;; amdgpu-corpus repo=ROCm/rocFFT kind=compiled arch=gfx906 opt=O3
	.text
	.amdgcn_target "amdgcn-amd-amdhsa--gfx906"
	.amdhsa_code_object_version 6
	.protected	fft_rtc_fwd_len1890_factors_2_3_3_3_7_5_wgs_126_tpt_126_halfLds_dp_op_CI_CI_sbrr_dirReg ; -- Begin function fft_rtc_fwd_len1890_factors_2_3_3_3_7_5_wgs_126_tpt_126_halfLds_dp_op_CI_CI_sbrr_dirReg
	.globl	fft_rtc_fwd_len1890_factors_2_3_3_3_7_5_wgs_126_tpt_126_halfLds_dp_op_CI_CI_sbrr_dirReg
	.p2align	8
	.type	fft_rtc_fwd_len1890_factors_2_3_3_3_7_5_wgs_126_tpt_126_halfLds_dp_op_CI_CI_sbrr_dirReg,@function
fft_rtc_fwd_len1890_factors_2_3_3_3_7_5_wgs_126_tpt_126_halfLds_dp_op_CI_CI_sbrr_dirReg: ; @fft_rtc_fwd_len1890_factors_2_3_3_3_7_5_wgs_126_tpt_126_halfLds_dp_op_CI_CI_sbrr_dirReg
; %bb.0:
	s_load_dwordx4 s[16:19], s[4:5], 0x18
	s_load_dwordx4 s[12:15], s[4:5], 0x0
	;; [unrolled: 1-line block ×3, first 2 shown]
	v_mul_u32_u24_e32 v1, 0x209, v0
	v_add_u32_sdwa v5, s6, v1 dst_sel:DWORD dst_unused:UNUSED_PAD src0_sel:DWORD src1_sel:WORD_1
	s_waitcnt lgkmcnt(0)
	s_load_dwordx2 s[20:21], s[16:17], 0x0
	s_load_dwordx2 s[2:3], s[18:19], 0x0
	v_cmp_lt_u64_e64 s[0:1], s[14:15], 2
	v_mov_b32_e32 v3, 0
	v_mov_b32_e32 v1, 0
	;; [unrolled: 1-line block ×3, first 2 shown]
	s_and_b64 vcc, exec, s[0:1]
	v_mov_b32_e32 v2, 0
	s_cbranch_vccnz .LBB0_8
; %bb.1:
	s_load_dwordx2 s[0:1], s[4:5], 0x10
	s_add_u32 s6, s18, 8
	s_addc_u32 s7, s19, 0
	s_add_u32 s22, s16, 8
	v_mov_b32_e32 v1, 0
	s_addc_u32 s23, s17, 0
	v_mov_b32_e32 v2, 0
	s_waitcnt lgkmcnt(0)
	s_add_u32 s24, s0, 8
	v_mov_b32_e32 v75, v2
	s_addc_u32 s25, s1, 0
	s_mov_b64 s[26:27], 1
	v_mov_b32_e32 v74, v1
.LBB0_2:                                ; =>This Inner Loop Header: Depth=1
	s_load_dwordx2 s[28:29], s[24:25], 0x0
                                        ; implicit-def: $vgpr76_vgpr77
	s_waitcnt lgkmcnt(0)
	v_or_b32_e32 v4, s29, v6
	v_cmp_ne_u64_e32 vcc, 0, v[3:4]
	s_and_saveexec_b64 s[0:1], vcc
	s_xor_b64 s[30:31], exec, s[0:1]
	s_cbranch_execz .LBB0_4
; %bb.3:                                ;   in Loop: Header=BB0_2 Depth=1
	v_cvt_f32_u32_e32 v4, s28
	v_cvt_f32_u32_e32 v7, s29
	s_sub_u32 s0, 0, s28
	s_subb_u32 s1, 0, s29
	v_mac_f32_e32 v4, 0x4f800000, v7
	v_rcp_f32_e32 v4, v4
	v_mul_f32_e32 v4, 0x5f7ffffc, v4
	v_mul_f32_e32 v7, 0x2f800000, v4
	v_trunc_f32_e32 v7, v7
	v_mac_f32_e32 v4, 0xcf800000, v7
	v_cvt_u32_f32_e32 v7, v7
	v_cvt_u32_f32_e32 v4, v4
	v_mul_lo_u32 v8, s0, v7
	v_mul_hi_u32 v9, s0, v4
	v_mul_lo_u32 v11, s1, v4
	v_mul_lo_u32 v10, s0, v4
	v_add_u32_e32 v8, v9, v8
	v_add_u32_e32 v8, v8, v11
	v_mul_hi_u32 v9, v4, v10
	v_mul_lo_u32 v11, v4, v8
	v_mul_hi_u32 v13, v4, v8
	v_mul_hi_u32 v12, v7, v10
	v_mul_lo_u32 v10, v7, v10
	v_mul_hi_u32 v14, v7, v8
	v_add_co_u32_e32 v9, vcc, v9, v11
	v_addc_co_u32_e32 v11, vcc, 0, v13, vcc
	v_mul_lo_u32 v8, v7, v8
	v_add_co_u32_e32 v9, vcc, v9, v10
	v_addc_co_u32_e32 v9, vcc, v11, v12, vcc
	v_addc_co_u32_e32 v10, vcc, 0, v14, vcc
	v_add_co_u32_e32 v8, vcc, v9, v8
	v_addc_co_u32_e32 v9, vcc, 0, v10, vcc
	v_add_co_u32_e32 v4, vcc, v4, v8
	v_addc_co_u32_e32 v7, vcc, v7, v9, vcc
	v_mul_lo_u32 v8, s0, v7
	v_mul_hi_u32 v9, s0, v4
	v_mul_lo_u32 v10, s1, v4
	v_mul_lo_u32 v11, s0, v4
	v_add_u32_e32 v8, v9, v8
	v_add_u32_e32 v8, v8, v10
	v_mul_lo_u32 v12, v4, v8
	v_mul_hi_u32 v13, v4, v11
	v_mul_hi_u32 v14, v4, v8
	;; [unrolled: 1-line block ×3, first 2 shown]
	v_mul_lo_u32 v11, v7, v11
	v_mul_hi_u32 v9, v7, v8
	v_add_co_u32_e32 v12, vcc, v13, v12
	v_addc_co_u32_e32 v13, vcc, 0, v14, vcc
	v_mul_lo_u32 v8, v7, v8
	v_add_co_u32_e32 v11, vcc, v12, v11
	v_addc_co_u32_e32 v10, vcc, v13, v10, vcc
	v_addc_co_u32_e32 v9, vcc, 0, v9, vcc
	v_add_co_u32_e32 v8, vcc, v10, v8
	v_addc_co_u32_e32 v9, vcc, 0, v9, vcc
	v_add_co_u32_e32 v4, vcc, v4, v8
	v_addc_co_u32_e32 v9, vcc, v7, v9, vcc
	v_mad_u64_u32 v[7:8], s[0:1], v5, v9, 0
	v_mul_hi_u32 v10, v5, v4
	v_add_co_u32_e32 v11, vcc, v10, v7
	v_addc_co_u32_e32 v12, vcc, 0, v8, vcc
	v_mad_u64_u32 v[7:8], s[0:1], v6, v4, 0
	v_mad_u64_u32 v[9:10], s[0:1], v6, v9, 0
	v_add_co_u32_e32 v4, vcc, v11, v7
	v_addc_co_u32_e32 v4, vcc, v12, v8, vcc
	v_addc_co_u32_e32 v7, vcc, 0, v10, vcc
	v_add_co_u32_e32 v4, vcc, v4, v9
	v_addc_co_u32_e32 v9, vcc, 0, v7, vcc
	v_mul_lo_u32 v10, s29, v4
	v_mul_lo_u32 v11, s28, v9
	v_mad_u64_u32 v[7:8], s[0:1], s28, v4, 0
	v_add3_u32 v8, v8, v11, v10
	v_sub_u32_e32 v10, v6, v8
	v_mov_b32_e32 v11, s29
	v_sub_co_u32_e32 v7, vcc, v5, v7
	v_subb_co_u32_e64 v10, s[0:1], v10, v11, vcc
	v_subrev_co_u32_e64 v11, s[0:1], s28, v7
	v_subbrev_co_u32_e64 v10, s[0:1], 0, v10, s[0:1]
	v_cmp_le_u32_e64 s[0:1], s29, v10
	v_cndmask_b32_e64 v12, 0, -1, s[0:1]
	v_cmp_le_u32_e64 s[0:1], s28, v11
	v_cndmask_b32_e64 v11, 0, -1, s[0:1]
	v_cmp_eq_u32_e64 s[0:1], s29, v10
	v_cndmask_b32_e64 v10, v12, v11, s[0:1]
	v_add_co_u32_e64 v11, s[0:1], 2, v4
	v_addc_co_u32_e64 v12, s[0:1], 0, v9, s[0:1]
	v_add_co_u32_e64 v13, s[0:1], 1, v4
	v_addc_co_u32_e64 v14, s[0:1], 0, v9, s[0:1]
	v_subb_co_u32_e32 v8, vcc, v6, v8, vcc
	v_cmp_ne_u32_e64 s[0:1], 0, v10
	v_cmp_le_u32_e32 vcc, s29, v8
	v_cndmask_b32_e64 v10, v14, v12, s[0:1]
	v_cndmask_b32_e64 v12, 0, -1, vcc
	v_cmp_le_u32_e32 vcc, s28, v7
	v_cndmask_b32_e64 v7, 0, -1, vcc
	v_cmp_eq_u32_e32 vcc, s29, v8
	v_cndmask_b32_e32 v7, v12, v7, vcc
	v_cmp_ne_u32_e32 vcc, 0, v7
	v_cndmask_b32_e64 v7, v13, v11, s[0:1]
	v_cndmask_b32_e32 v77, v9, v10, vcc
	v_cndmask_b32_e32 v76, v4, v7, vcc
.LBB0_4:                                ;   in Loop: Header=BB0_2 Depth=1
	s_andn2_saveexec_b64 s[0:1], s[30:31]
	s_cbranch_execz .LBB0_6
; %bb.5:                                ;   in Loop: Header=BB0_2 Depth=1
	v_cvt_f32_u32_e32 v4, s28
	s_sub_i32 s30, 0, s28
	v_mov_b32_e32 v77, v3
	v_rcp_iflag_f32_e32 v4, v4
	v_mul_f32_e32 v4, 0x4f7ffffe, v4
	v_cvt_u32_f32_e32 v4, v4
	v_mul_lo_u32 v7, s30, v4
	v_mul_hi_u32 v7, v4, v7
	v_add_u32_e32 v4, v4, v7
	v_mul_hi_u32 v4, v5, v4
	v_mul_lo_u32 v7, v4, s28
	v_add_u32_e32 v8, 1, v4
	v_sub_u32_e32 v7, v5, v7
	v_subrev_u32_e32 v9, s28, v7
	v_cmp_le_u32_e32 vcc, s28, v7
	v_cndmask_b32_e32 v7, v7, v9, vcc
	v_cndmask_b32_e32 v4, v4, v8, vcc
	v_add_u32_e32 v8, 1, v4
	v_cmp_le_u32_e32 vcc, s28, v7
	v_cndmask_b32_e32 v76, v4, v8, vcc
.LBB0_6:                                ;   in Loop: Header=BB0_2 Depth=1
	s_or_b64 exec, exec, s[0:1]
	v_mul_lo_u32 v4, v77, s28
	v_mul_lo_u32 v9, v76, s29
	v_mad_u64_u32 v[7:8], s[0:1], v76, s28, 0
	s_load_dwordx2 s[0:1], s[22:23], 0x0
	s_load_dwordx2 s[28:29], s[6:7], 0x0
	v_add3_u32 v4, v8, v9, v4
	v_sub_co_u32_e32 v5, vcc, v5, v7
	v_subb_co_u32_e32 v4, vcc, v6, v4, vcc
	s_waitcnt lgkmcnt(0)
	v_mul_lo_u32 v6, s0, v4
	v_mul_lo_u32 v7, s1, v5
	v_mad_u64_u32 v[1:2], s[0:1], s0, v5, v[1:2]
	v_mul_lo_u32 v4, s28, v4
	v_mul_lo_u32 v8, s29, v5
	v_mad_u64_u32 v[74:75], s[0:1], s28, v5, v[74:75]
	s_add_u32 s26, s26, 1
	s_addc_u32 s27, s27, 0
	s_add_u32 s6, s6, 8
	v_add3_u32 v75, v8, v75, v4
	s_addc_u32 s7, s7, 0
	v_mov_b32_e32 v4, s14
	s_add_u32 s22, s22, 8
	v_mov_b32_e32 v5, s15
	s_addc_u32 s23, s23, 0
	v_cmp_ge_u64_e32 vcc, s[26:27], v[4:5]
	s_add_u32 s24, s24, 8
	v_add3_u32 v2, v7, v2, v6
	s_addc_u32 s25, s25, 0
	s_cbranch_vccnz .LBB0_9
; %bb.7:                                ;   in Loop: Header=BB0_2 Depth=1
	v_mov_b32_e32 v5, v76
	v_mov_b32_e32 v6, v77
	s_branch .LBB0_2
.LBB0_8:
	v_mov_b32_e32 v75, v2
	v_mov_b32_e32 v77, v6
	;; [unrolled: 1-line block ×4, first 2 shown]
.LBB0_9:
	s_load_dwordx2 s[0:1], s[4:5], 0x28
	s_lshl_b64 s[14:15], s[14:15], 3
	s_add_u32 s4, s18, s14
	s_addc_u32 s5, s19, s15
                                        ; implicit-def: $vgpr114
                                        ; implicit-def: $vgpr115
                                        ; implicit-def: $vgpr116
                                        ; implicit-def: $vgpr79
                                        ; implicit-def: $vgpr78
                                        ; implicit-def: $vgpr66
                                        ; implicit-def: $vgpr118
	s_waitcnt lgkmcnt(0)
	v_cmp_gt_u64_e32 vcc, s[0:1], v[76:77]
	v_cmp_le_u64_e64 s[0:1], s[0:1], v[76:77]
	s_and_saveexec_b64 s[6:7], s[0:1]
	s_xor_b64 s[0:1], exec, s[6:7]
; %bb.10:
	s_mov_b32 s6, 0x2082083
	v_mul_hi_u32 v1, v0, s6
	v_mul_u32_u24_e32 v1, 0x7e, v1
	v_sub_u32_e32 v114, v0, v1
	v_add_u32_e32 v115, 0x7e, v114
	v_add_u32_e32 v116, 0xfc, v114
	;; [unrolled: 1-line block ×6, first 2 shown]
                                        ; implicit-def: $vgpr0
                                        ; implicit-def: $vgpr1_vgpr2
; %bb.11:
	s_or_saveexec_b64 s[6:7], s[0:1]
	s_load_dwordx2 s[4:5], s[4:5], 0x0
                                        ; implicit-def: $vgpr56_vgpr57
                                        ; implicit-def: $vgpr36_vgpr37
                                        ; implicit-def: $vgpr28_vgpr29
                                        ; implicit-def: $vgpr4_vgpr5
                                        ; implicit-def: $vgpr32_vgpr33
                                        ; implicit-def: $vgpr8_vgpr9
                                        ; implicit-def: $vgpr40_vgpr41
                                        ; implicit-def: $vgpr12_vgpr13
                                        ; implicit-def: $vgpr44_vgpr45
                                        ; implicit-def: $vgpr16_vgpr17
                                        ; implicit-def: $vgpr48_vgpr49
                                        ; implicit-def: $vgpr20_vgpr21
                                        ; implicit-def: $vgpr52_vgpr53
                                        ; implicit-def: $vgpr24_vgpr25
                                        ; implicit-def: $vgpr64_vgpr65
                                        ; implicit-def: $vgpr60_vgpr61
	s_xor_b64 exec, exec, s[6:7]
	s_cbranch_execz .LBB0_15
; %bb.12:
	s_add_u32 s0, s16, s14
	s_mov_b32 s14, 0x2082083
	v_mul_hi_u32 v3, v0, s14
	s_addc_u32 s1, s17, s15
	s_load_dwordx2 s[0:1], s[0:1], 0x0
	v_mul_u32_u24_e32 v3, 0x7e, v3
	v_sub_u32_e32 v114, v0, v3
	v_mad_u64_u32 v[3:4], s[14:15], s20, v114, 0
	s_waitcnt lgkmcnt(0)
	v_mul_lo_u32 v9, s1, v76
	v_mul_lo_u32 v10, s0, v77
	v_mad_u64_u32 v[5:6], s[0:1], s0, v76, 0
	v_mov_b32_e32 v0, v4
	v_mad_u64_u32 v[7:8], s[0:1], s21, v114, v[0:1]
	v_add3_u32 v6, v6, v10, v9
	v_lshlrev_b64 v[5:6], 4, v[5:6]
	v_mov_b32_e32 v4, v7
	v_mov_b32_e32 v0, s9
	v_add_co_u32_e64 v7, s[0:1], s8, v5
	v_add_u32_e32 v9, 0x3b1, v114
	v_addc_co_u32_e64 v8, s[0:1], v0, v6, s[0:1]
	v_mad_u64_u32 v[5:6], s[0:1], s20, v9, 0
	v_lshlrev_b64 v[0:1], 4, v[1:2]
	v_lshlrev_b64 v[2:3], 4, v[3:4]
	v_add_co_u32_e64 v0, s[0:1], v7, v0
	v_mov_b32_e32 v4, v6
	v_addc_co_u32_e64 v1, s[0:1], v8, v1, s[0:1]
	v_mad_u64_u32 v[6:7], s[0:1], s21, v9, v[4:5]
	v_add_u32_e32 v115, 0x7e, v114
	v_mad_u64_u32 v[7:8], s[0:1], s20, v115, 0
	v_add_co_u32_e64 v34, s[0:1], v0, v2
	v_mov_b32_e32 v4, v8
	v_addc_co_u32_e64 v35, s[0:1], v1, v3, s[0:1]
	v_lshlrev_b64 v[2:3], 4, v[5:6]
	v_mad_u64_u32 v[4:5], s[0:1], s21, v115, v[4:5]
	v_add_u32_e32 v9, 0x42f, v114
	v_mad_u64_u32 v[5:6], s[0:1], s20, v9, 0
	v_add_co_u32_e64 v36, s[0:1], v0, v2
	v_mov_b32_e32 v8, v4
	v_mov_b32_e32 v4, v6
	v_addc_co_u32_e64 v37, s[0:1], v1, v3, s[0:1]
	v_lshlrev_b64 v[2:3], 4, v[7:8]
	v_mad_u64_u32 v[6:7], s[0:1], s21, v9, v[4:5]
	v_add_u32_e32 v116, 0xfc, v114
	v_mad_u64_u32 v[7:8], s[0:1], s20, v116, 0
	v_add_co_u32_e64 v54, s[0:1], v0, v2
	v_mov_b32_e32 v4, v8
	v_addc_co_u32_e64 v55, s[0:1], v1, v3, s[0:1]
	v_lshlrev_b64 v[2:3], 4, v[5:6]
	v_mad_u64_u32 v[4:5], s[0:1], s21, v116, v[4:5]
	v_add_u32_e32 v9, 0x4ad, v114
	v_mad_u64_u32 v[5:6], s[0:1], s20, v9, 0
	v_add_co_u32_e64 v56, s[0:1], v0, v2
	v_mov_b32_e32 v8, v4
	v_mov_b32_e32 v4, v6
	v_addc_co_u32_e64 v57, s[0:1], v1, v3, s[0:1]
	v_lshlrev_b64 v[2:3], 4, v[7:8]
	;; [unrolled: 15-line block ×6, first 2 shown]
	v_mad_u64_u32 v[6:7], s[0:1], s21, v9, v[4:5]
	v_add_co_u32_e64 v90, s[0:1], v0, v2
	v_addc_co_u32_e64 v91, s[0:1], v1, v3, s[0:1]
	v_lshlrev_b64 v[2:3], 4, v[5:6]
	v_add_co_u32_e64 v92, s[0:1], v0, v2
	v_addc_co_u32_e64 v93, s[0:1], v1, v3, s[0:1]
	global_load_dwordx4 v[58:61], v[34:35], off
	global_load_dwordx4 v[62:65], v[36:37], off
	;; [unrolled: 1-line block ×14, first 2 shown]
	v_cmp_gt_u32_e64 s[0:1], 63, v114
                                        ; implicit-def: $vgpr34_vgpr35
                                        ; implicit-def: $vgpr54_vgpr55
	s_and_saveexec_b64 s[8:9], s[0:1]
	s_cbranch_execz .LBB0_14
; %bb.13:
	v_add_u32_e32 v54, 0x372, v114
	v_add_u32_e32 v56, 0x723, v114
	v_mad_u64_u32 v[34:35], s[0:1], s20, v54, 0
	v_mad_u64_u32 v[36:37], s[0:1], s20, v56, 0
	;; [unrolled: 1-line block ×3, first 2 shown]
	v_mov_b32_e32 v35, v54
	s_waitcnt vmcnt(4)
	v_mad_u64_u32 v[54:55], s[0:1], s21, v56, v[37:38]
	v_lshlrev_b64 v[34:35], 4, v[34:35]
	v_add_co_u32_e64 v67, s[0:1], v0, v34
	v_mov_b32_e32 v37, v54
	v_addc_co_u32_e64 v68, s[0:1], v1, v35, s[0:1]
	v_lshlrev_b64 v[34:35], 4, v[36:37]
	v_add_co_u32_e64 v0, s[0:1], v0, v34
	v_addc_co_u32_e64 v1, s[0:1], v1, v35, s[0:1]
	global_load_dwordx4 v[34:37], v[67:68], off
	global_load_dwordx4 v[54:57], v[0:1], off
.LBB0_14:
	s_or_b64 exec, exec, s[8:9]
.LBB0_15:
	s_or_b64 exec, exec, s[6:7]
	s_waitcnt vmcnt(12)
	v_add_f64 v[69:70], v[58:59], -v[62:63]
	s_waitcnt vmcnt(10)
	v_add_f64 v[82:83], v[22:23], -v[50:51]
	;; [unrolled: 2-line block ×7, first 2 shown]
	v_lshl_add_u32 v51, v114, 4, 0
	v_fma_f64 v[67:68], v[58:59], 2.0, -v[69:70]
	v_fma_f64 v[80:81], v[22:23], 2.0, -v[82:83]
	;; [unrolled: 1-line block ×3, first 2 shown]
	v_lshl_add_u32 v46, v115, 4, 0
	v_lshl_add_u32 v38, v116, 4, 0
	v_fma_f64 v[88:89], v[14:15], 2.0, -v[90:91]
	v_fma_f64 v[92:93], v[10:11], 2.0, -v[94:95]
	;; [unrolled: 1-line block ×3, first 2 shown]
	ds_write_b128 v51, v[67:70]
	ds_write_b128 v46, v[80:83]
	;; [unrolled: 1-line block ×3, first 2 shown]
	v_fma_f64 v[69:70], v[6:7], 2.0, -v[71:72]
	v_add_f64 v[2:3], v[34:35], -v[54:55]
	v_add_u32_e32 v0, 0x372, v114
	v_lshl_add_u32 v39, v79, 4, 0
	v_lshl_add_u32 v47, v78, 4, 0
	;; [unrolled: 1-line block ×4, first 2 shown]
	v_cmp_gt_u32_e64 s[0:1], 63, v114
	v_lshl_add_u32 v54, v0, 4, 0
	ds_write_b128 v39, v[88:91]
	ds_write_b128 v47, v[92:95]
	;; [unrolled: 1-line block ×4, first 2 shown]
	s_and_saveexec_b64 s[6:7], s[0:1]
	s_cbranch_execz .LBB0_17
; %bb.16:
	v_fma_f64 v[0:1], v[34:35], 2.0, -v[2:3]
	ds_write_b128 v54, v[0:3]
.LBB0_17:
	s_or_b64 exec, exec, s[6:7]
	v_add_f64 v[82:83], v[60:61], -v[64:65]
	v_lshlrev_b32_e32 v0, 3, v114
	v_lshlrev_b32_e32 v110, 3, v116
	;; [unrolled: 1-line block ×4, first 2 shown]
	v_add_f64 v[86:87], v[24:25], -v[52:53]
	v_add_f64 v[90:91], v[20:21], -v[48:49]
	v_lshlrev_b32_e32 v108, 3, v66
	v_sub_u32_e32 v117, v51, v0
	v_lshlrev_b32_e32 v109, 3, v115
	v_sub_u32_e32 v0, v38, v110
	v_sub_u32_e32 v1, v39, v111
	;; [unrolled: 1-line block ×3, first 2 shown]
	v_add_f64 v[94:95], v[16:17], -v[44:45]
	s_waitcnt lgkmcnt(0)
	s_barrier
	v_sub_u32_e32 v6, v50, v108
	v_fma_f64 v[80:81], v[60:61], 2.0, -v[82:83]
	v_add_u32_e32 v34, 0x2400, v117
	v_sub_u32_e32 v7, v46, v109
	v_add_u32_e32 v35, 0x1400, v117
	v_add_u32_e32 v42, 0x2c00, v117
	v_add_u32_e32 v43, 0x1c00, v117
	ds_read_b64 v[14:15], v0
	ds_read_b64 v[10:11], v1
	;; [unrolled: 1-line block ×6, first 2 shown]
	ds_read_b64 v[26:27], v117 offset:14112
	ds_read2_b64 v[70:73], v34 offset0:108 offset1:234
	ds_read2_b64 v[66:69], v35 offset0:116 offset1:242
	;; [unrolled: 1-line block ×4, first 2 shown]
	v_add_f64 v[98:99], v[12:13], -v[40:41]
	v_add_f64 v[102:103], v[8:9], -v[32:33]
	;; [unrolled: 1-line block ×3, first 2 shown]
	v_fma_f64 v[84:85], v[24:25], 2.0, -v[86:87]
	v_fma_f64 v[88:89], v[20:21], 2.0, -v[90:91]
	v_add_f64 v[6:7], v[36:37], -v[56:57]
	v_fma_f64 v[92:93], v[16:17], 2.0, -v[94:95]
	v_sub_u32_e32 v16, 0, v108
	v_fma_f64 v[96:97], v[12:13], 2.0, -v[98:99]
	v_fma_f64 v[100:101], v[8:9], 2.0, -v[102:103]
	;; [unrolled: 1-line block ×3, first 2 shown]
	v_sub_u32_e32 v13, 0, v109
	v_sub_u32_e32 v12, 0, v110
	;; [unrolled: 1-line block ×4, first 2 shown]
	s_waitcnt lgkmcnt(0)
	s_barrier
	ds_write_b128 v51, v[80:83]
	ds_write_b128 v46, v[84:87]
	;; [unrolled: 1-line block ×7, first 2 shown]
	s_and_saveexec_b64 s[6:7], s[0:1]
	s_cbranch_execz .LBB0_19
; %bb.18:
	v_fma_f64 v[4:5], v[36:37], 2.0, -v[6:7]
	ds_write_b128 v54, v[4:7]
.LBB0_19:
	s_or_b64 exec, exec, s[6:7]
	v_and_b32_e32 v130, 1, v114
	v_lshlrev_b32_e32 v4, 5, v130
	s_waitcnt lgkmcnt(0)
	s_barrier
	global_load_dwordx4 v[51:54], v4, s[12:13]
	global_load_dwordx4 v[80:83], v4, s[12:13] offset:16
	ds_read2_b64 v[84:87], v34 offset0:108 offset1:234
	ds_read2_b64 v[88:91], v35 offset0:116 offset1:242
	v_add_u32_e32 v5, v50, v16
	ds_read_b64 v[20:21], v117
	v_add_u32_e32 v120, v46, v13
	v_add_u32_e32 v121, v38, v12
	ds_read2_b64 v[92:95], v42 offset0:104 offset1:230
	v_add_u32_e32 v119, v39, v9
	ds_read2_b64 v[36:39], v43 offset0:112 offset1:238
	v_add_u32_e32 v4, v47, v8
	ds_read_b64 v[8:9], v5
	ds_read_b64 v[12:13], v120
	;; [unrolled: 1-line block ×5, first 2 shown]
	ds_read_b64 v[32:33], v117 offset:14112
	s_mov_b32 s6, 0xe8584caa
	s_mov_b32 s7, 0x3febb67a
	;; [unrolled: 1-line block ×4, first 2 shown]
	s_waitcnt vmcnt(0) lgkmcnt(0)
	s_barrier
	s_movk_i32 s0, 0xab
	v_mul_f64 v[40:41], v[8:9], v[53:54]
	v_mul_f64 v[46:47], v[84:85], v[82:83]
	;; [unrolled: 1-line block ×11, first 2 shown]
	v_fma_f64 v[30:31], v[30:31], v[51:52], -v[40:41]
	v_fma_f64 v[40:41], v[70:71], v[80:81], -v[46:47]
	;; [unrolled: 1-line block ×4, first 2 shown]
	v_fma_f64 v[70:71], v[90:91], v[51:52], v[104:105]
	v_fma_f64 v[72:73], v[92:93], v[80:81], v[108:109]
	v_mul_f64 v[96:97], v[66:67], v[53:54]
	v_mul_f64 v[110:111], v[36:37], v[53:54]
	;; [unrolled: 1-line block ×7, first 2 shown]
	v_fma_f64 v[66:67], v[86:87], v[80:81], v[100:101]
	v_fma_f64 v[68:69], v[68:69], v[51:52], -v[102:103]
	v_fma_f64 v[62:63], v[62:63], v[80:81], -v[106:107]
	v_add_f64 v[98:99], v[70:71], -v[72:73]
	v_add_f64 v[100:101], v[16:17], v[70:71]
	v_add_f64 v[70:71], v[70:71], v[72:73]
	v_mul_f64 v[122:123], v[94:95], v[82:83]
	v_mul_f64 v[82:83], v[26:27], v[82:83]
	v_fma_f64 v[8:9], v[8:9], v[51:52], v[44:45]
	v_fma_f64 v[44:45], v[84:85], v[80:81], v[48:49]
	;; [unrolled: 1-line block ×3, first 2 shown]
	v_fma_f64 v[57:58], v[58:59], v[51:52], -v[110:111]
	v_fma_f64 v[36:37], v[36:37], v[51:52], v[112:113]
	v_fma_f64 v[84:85], v[94:95], v[80:81], v[124:125]
	v_fma_f64 v[59:60], v[60:61], v[51:52], -v[126:127]
	v_fma_f64 v[38:39], v[38:39], v[51:52], v[53:54]
	v_fma_f64 v[26:27], v[26:27], v[80:81], -v[128:129]
	v_add_f64 v[52:53], v[30:31], v[40:41]
	v_add_f64 v[94:95], v[14:15], v[68:69]
	;; [unrolled: 1-line block ×3, first 2 shown]
	v_add_f64 v[68:69], v[68:69], -v[62:63]
	v_fma_f64 v[16:17], v[70:71], -0.5, v[16:17]
	v_fma_f64 v[32:33], v[32:33], v[80:81], v[82:83]
	v_add_f64 v[82:83], v[20:21], v[8:9]
	v_fma_f64 v[64:65], v[64:65], v[80:81], -v[122:123]
	v_add_f64 v[50:51], v[22:23], v[30:31]
	v_add_f64 v[80:81], v[8:9], -v[44:45]
	v_add_f64 v[8:9], v[8:9], v[44:45]
	v_add_f64 v[86:87], v[18:19], v[46:47]
	v_add_f64 v[90:91], v[48:49], -v[66:67]
	v_add_f64 v[92:93], v[12:13], v[48:49]
	v_add_f64 v[48:49], v[48:49], v[66:67]
	;; [unrolled: 1-line block ×4, first 2 shown]
	v_fma_f64 v[22:23], v[52:53], -0.5, v[22:23]
	v_add_f64 v[52:53], v[100:101], v[72:73]
	v_fma_f64 v[72:73], v[68:69], s[8:9], v[16:17]
	v_fma_f64 v[68:69], v[68:69], s[6:7], v[16:17]
	v_add_f64 v[16:17], v[59:60], v[26:27]
	v_add_f64 v[88:89], v[46:47], v[55:56]
	v_add_f64 v[44:45], v[82:83], v[44:45]
	v_add_f64 v[82:83], v[38:39], v[32:33]
	v_add_f64 v[46:47], v[46:47], -v[55:56]
	v_add_f64 v[104:105], v[57:58], v[64:65]
	v_add_f64 v[106:107], v[36:37], -v[84:85]
	v_fma_f64 v[8:9], v[8:9], -0.5, v[20:21]
	v_add_f64 v[20:21], v[86:87], v[55:56]
	v_fma_f64 v[12:13], v[48:49], -0.5, v[12:13]
	v_add_f64 v[48:49], v[94:95], v[62:63]
	v_add_f64 v[54:55], v[102:103], v[64:65]
	;; [unrolled: 1-line block ×3, first 2 shown]
	v_fma_f64 v[24:25], v[108:109], -0.5, v[24:25]
	v_add_f64 v[56:57], v[57:58], -v[64:65]
	v_add_f64 v[63:64], v[0:1], v[59:60]
	v_fma_f64 v[0:1], v[16:17], -0.5, v[0:1]
	v_add_f64 v[16:17], v[38:39], -v[32:33]
	v_add_f64 v[30:31], v[30:31], -v[40:41]
	v_fma_f64 v[18:19], v[88:89], -0.5, v[18:19]
	v_fma_f64 v[14:15], v[96:97], -0.5, v[14:15]
	v_add_f64 v[38:39], v[28:29], v[38:39]
	v_fma_f64 v[28:29], v[82:83], -0.5, v[28:29]
	v_add_f64 v[58:59], v[59:60], -v[26:27]
	v_fma_f64 v[82:83], v[56:57], s[8:9], v[24:25]
	v_fma_f64 v[56:57], v[56:57], s[6:7], v[24:25]
	v_add_f64 v[24:25], v[63:64], v[26:27]
	v_fma_f64 v[26:27], v[16:17], s[6:7], v[0:1]
	v_fma_f64 v[0:1], v[16:17], s[8:9], v[0:1]
	v_lshrrev_b32_e32 v17, 1, v115
	v_fma_f64 v[10:11], v[104:105], -0.5, v[10:11]
	v_mul_lo_u32 v17, v17, 6
	v_lshrrev_b32_e32 v16, 1, v114
	v_add_f64 v[40:41], v[50:51], v[40:41]
	v_add_f64 v[50:51], v[92:93], v[66:67]
	v_fma_f64 v[61:62], v[80:81], s[6:7], v[22:23]
	v_fma_f64 v[66:67], v[30:31], s[8:9], v[8:9]
	;; [unrolled: 1-line block ×4, first 2 shown]
	v_mul_u32_u24_e32 v16, 6, v16
	v_fma_f64 v[22:23], v[80:81], s[8:9], v[22:23]
	v_fma_f64 v[18:19], v[90:91], s[8:9], v[18:19]
	v_fma_f64 v[70:71], v[46:47], s[8:9], v[12:13]
	v_fma_f64 v[46:47], v[46:47], s[6:7], v[12:13]
	v_fma_f64 v[12:13], v[98:99], s[6:7], v[14:15]
	v_or_b32_e32 v16, v16, v130
	v_fma_f64 v[14:15], v[98:99], s[8:9], v[14:15]
	v_add_f64 v[32:33], v[38:39], v[32:33]
	v_fma_f64 v[38:39], v[58:59], s[8:9], v[28:29]
	v_fma_f64 v[28:29], v[58:59], s[6:7], v[28:29]
	v_lshl_add_u32 v58, v16, 3, 0
	v_or_b32_e32 v16, v17, v130
	v_lshrrev_b32_e32 v17, 1, v116
	v_mul_lo_u32 v17, v17, 6
	v_fma_f64 v[80:81], v[106:107], s[6:7], v[10:11]
	v_fma_f64 v[10:11], v[106:107], s[8:9], v[10:11]
	v_lshl_add_u32 v59, v16, 3, 0
	v_or_b32_e32 v16, v17, v130
	v_lshrrev_b32_e32 v17, 1, v79
	ds_write2_b64 v58, v[40:41], v[61:62] offset1:2
	ds_write_b64 v58, v[22:23] offset:32
	ds_write2_b64 v59, v[20:21], v[30:31] offset1:2
	ds_write_b64 v59, v[18:19] offset:32
	v_mul_lo_u32 v17, v17, 6
	v_lshl_add_u32 v30, v16, 3, 0
	ds_write2_b64 v30, v[48:49], v[12:13] offset1:2
	ds_write_b64 v30, v[14:15] offset:32
	v_lshrrev_b32_e32 v13, 1, v78
	v_mul_lo_u32 v13, v13, 6
	v_or_b32_e32 v12, v17, v130
	v_lshl_add_u32 v31, v12, 3, 0
	v_add_f64 v[36:37], v[36:37], v[84:85]
	ds_write2_b64 v31, v[54:55], v[80:81] offset1:2
	ds_write_b64 v31, v[10:11] offset:32
	v_or_b32_e32 v10, v13, v130
	v_lshl_add_u32 v10, v10, 3, 0
	ds_write2_b64 v10, v[24:25], v[26:27] offset1:2
	ds_write_b64 v10, v[0:1] offset:32
	s_waitcnt lgkmcnt(0)
	s_barrier
	ds_read_b64 v[40:41], v117
	ds_read2_b64 v[11:14], v34 offset0:108 offset1:234
	ds_read_b64 v[100:101], v120
	ds_read2_b64 v[15:18], v35 offset0:116 offset1:242
	ds_read2_b64 v[19:22], v42 offset0:104 offset1:230
	;; [unrolled: 1-line block ×3, first 2 shown]
	ds_read_b64 v[102:103], v121
	ds_read_b64 v[104:105], v119
	;; [unrolled: 1-line block ×4, first 2 shown]
	ds_read_b64 v[108:109], v117 offset:14112
	s_waitcnt lgkmcnt(0)
	s_barrier
	ds_write2_b64 v58, v[44:45], v[66:67] offset1:2
	ds_write_b64 v58, v[8:9] offset:32
	ds_write2_b64 v59, v[50:51], v[70:71] offset1:2
	ds_write_b64 v59, v[46:47] offset:32
	;; [unrolled: 2-line block ×5, first 2 shown]
	v_mul_lo_u16_sdwa v8, v114, s0 dst_sel:DWORD dst_unused:UNUSED_PAD src0_sel:BYTE_0 src1_sel:DWORD
	v_lshrrev_b16_e32 v9, 10, v8
	v_mul_lo_u16_e32 v8, 6, v9
	v_sub_u16_e32 v10, v114, v8
	v_mov_b32_e32 v8, 5
	v_lshlrev_b32_sdwa v31, v8, v10 dst_sel:DWORD dst_unused:UNUSED_PAD src0_sel:DWORD src1_sel:BYTE_0
	s_waitcnt lgkmcnt(0)
	s_barrier
	global_load_dwordx4 v[27:30], v31, s[12:13] offset:64
	global_load_dwordx4 v[36:39], v31, s[12:13] offset:80
	v_mul_lo_u16_sdwa v31, v115, s0 dst_sel:DWORD dst_unused:UNUSED_PAD src0_sel:BYTE_0 src1_sel:DWORD
	v_lshrrev_b16_e32 v33, 10, v31
	v_mul_lo_u16_e32 v31, 6, v33
	v_sub_u16_e32 v134, v115, v31
	v_lshlrev_b32_sdwa v31, v8, v134 dst_sel:DWORD dst_unused:UNUSED_PAD src0_sel:DWORD src1_sel:BYTE_0
	global_load_dwordx4 v[44:47], v31, s[12:13] offset:64
	global_load_dwordx4 v[48:51], v31, s[12:13] offset:80
	s_mov_b32 s0, 0xaaab
	v_mul_u32_u24_sdwa v31, v116, s0 dst_sel:DWORD dst_unused:UNUSED_PAD src0_sel:WORD_0 src1_sel:DWORD
	v_lshrrev_b32_e32 v135, 18, v31
	v_mul_lo_u16_e32 v31, 6, v135
	v_sub_u16_e32 v136, v116, v31
	v_lshlrev_b32_e32 v31, 5, v136
	global_load_dwordx4 v[52:55], v31, s[12:13] offset:64
	global_load_dwordx4 v[56:59], v31, s[12:13] offset:80
	v_mul_u32_u24_sdwa v31, v79, s0 dst_sel:DWORD dst_unused:UNUSED_PAD src0_sel:WORD_0 src1_sel:DWORD
	v_lshrrev_b32_e32 v137, 18, v31
	v_mul_lo_u16_e32 v31, 6, v137
	v_sub_u16_e32 v138, v79, v31
	v_lshlrev_b32_e32 v31, 5, v138
	global_load_dwordx4 v[60:63], v31, s[12:13] offset:64
	global_load_dwordx4 v[64:67], v31, s[12:13] offset:80
	;; [unrolled: 7-line block ×3, first 2 shown]
	ds_read_b64 v[31:32], v117
	ds_read2_b64 v[84:87], v34 offset0:108 offset1:234
	ds_read_b64 v[72:73], v120
	ds_read_b64 v[110:111], v5
	ds_read2_b64 v[88:91], v35 offset0:116 offset1:242
	ds_read2_b64 v[92:95], v42 offset0:104 offset1:230
	;; [unrolled: 1-line block ×3, first 2 shown]
	ds_read_b64 v[112:113], v117 offset:14112
	ds_read_b64 v[126:127], v121
	ds_read_b64 v[128:129], v119
	;; [unrolled: 1-line block ×3, first 2 shown]
	s_waitcnt vmcnt(0) lgkmcnt(0)
	s_barrier
	s_mov_b32 s0, 0xe38f
	v_mul_f64 v[122:123], v[110:111], v[29:30]
	v_mul_f64 v[29:30], v[106:107], v[29:30]
	;; [unrolled: 1-line block ×6, first 2 shown]
	v_fma_f64 v[106:107], v[106:107], v[27:28], -v[122:123]
	v_fma_f64 v[27:28], v[110:111], v[27:28], v[29:30]
	v_mul_f64 v[29:30], v[86:87], v[50:51]
	v_fma_f64 v[11:12], v[11:12], v[36:37], -v[124:125]
	v_fma_f64 v[36:37], v[84:85], v[36:37], v[38:39]
	v_mul_f64 v[38:39], v[90:91], v[54:55]
	;; [unrolled: 3-line block ×3, first 2 shown]
	v_mul_f64 v[50:51], v[13:14], v[50:51]
	v_fma_f64 v[13:14], v[13:14], v[48:49], -v[29:30]
	v_mul_f64 v[29:30], v[92:93], v[58:59]
	v_mul_f64 v[54:55], v[96:97], v[62:63]
	v_fma_f64 v[17:18], v[17:18], v[52:53], -v[38:39]
	v_mul_f64 v[38:39], v[23:24], v[62:63]
	v_add_f64 v[62:63], v[27:28], v[36:37]
	v_fma_f64 v[46:47], v[90:91], v[52:53], v[46:47]
	v_mul_f64 v[52:53], v[94:95], v[66:67]
	v_fma_f64 v[48:49], v[86:87], v[48:49], v[50:51]
	v_mul_f64 v[50:51], v[19:20], v[58:59]
	v_fma_f64 v[19:20], v[19:20], v[56:57], -v[29:30]
	v_mul_f64 v[29:30], v[21:22], v[66:67]
	v_fma_f64 v[23:24], v[23:24], v[60:61], -v[54:55]
	v_mul_f64 v[54:55], v[98:99], v[70:71]
	v_fma_f64 v[38:39], v[96:97], v[60:61], v[38:39]
	v_fma_f64 v[21:22], v[21:22], v[64:65], -v[52:53]
	v_add_f64 v[52:53], v[106:107], v[11:12]
	v_fma_f64 v[50:51], v[92:93], v[56:57], v[50:51]
	v_mul_f64 v[56:57], v[25:26], v[70:71]
	v_fma_f64 v[29:30], v[94:95], v[64:65], v[29:30]
	v_add_f64 v[64:65], v[15:16], v[13:14]
	v_fma_f64 v[25:26], v[25:26], v[68:69], -v[54:55]
	v_add_f64 v[54:55], v[40:41], v[106:107]
	v_add_f64 v[66:67], v[44:45], -v[48:49]
	v_fma_f64 v[40:41], v[52:53], -0.5, v[40:41]
	v_add_f64 v[52:53], v[27:28], -v[36:37]
	v_add_f64 v[27:28], v[31:32], v[27:28]
	v_fma_f64 v[31:32], v[62:63], -0.5, v[31:32]
	v_fma_f64 v[64:65], v[64:65], -0.5, v[100:101]
	v_mul_f64 v[58:59], v[112:113], v[82:83]
	v_add_f64 v[54:55], v[54:55], v[11:12]
	v_add_f64 v[11:12], v[106:107], -v[11:12]
	v_mul_f64 v[60:61], v[108:109], v[82:83]
	v_fma_f64 v[62:63], v[52:53], s[6:7], v[40:41]
	v_fma_f64 v[40:41], v[52:53], s[8:9], v[40:41]
	v_add_f64 v[52:53], v[100:101], v[15:16]
	v_add_f64 v[27:28], v[27:28], v[36:37]
	;; [unrolled: 1-line block ×4, first 2 shown]
	v_fma_f64 v[56:57], v[98:99], v[68:69], v[56:57]
	v_fma_f64 v[68:69], v[11:12], s[8:9], v[31:32]
	v_fma_f64 v[31:32], v[11:12], s[6:7], v[31:32]
	v_fma_f64 v[58:59], v[108:109], v[80:81], -v[58:59]
	v_add_f64 v[11:12], v[52:53], v[13:14]
	v_add_f64 v[52:53], v[17:18], v[19:20]
	v_fma_f64 v[36:37], v[36:37], -0.5, v[72:73]
	v_add_f64 v[13:14], v[15:16], -v[13:14]
	v_fma_f64 v[15:16], v[66:67], s[6:7], v[64:65]
	v_fma_f64 v[64:65], v[66:67], s[8:9], v[64:65]
	v_add_f64 v[44:45], v[44:45], v[48:49]
	v_add_f64 v[48:49], v[46:47], v[50:51]
	;; [unrolled: 1-line block ×3, first 2 shown]
	v_fma_f64 v[60:61], v[112:113], v[80:81], v[60:61]
	v_add_f64 v[80:81], v[23:24], v[21:22]
	v_fma_f64 v[52:53], v[52:53], -0.5, v[102:103]
	v_add_f64 v[70:71], v[46:47], -v[50:51]
	v_fma_f64 v[72:73], v[13:14], s[8:9], v[36:37]
	v_fma_f64 v[36:37], v[13:14], s[6:7], v[36:37]
	v_add_f64 v[13:14], v[126:127], v[46:47]
	v_fma_f64 v[46:47], v[48:49], -0.5, v[126:127]
	v_add_f64 v[17:18], v[17:18], -v[19:20]
	v_add_f64 v[19:20], v[66:67], v[19:20]
	v_add_f64 v[66:67], v[104:105], v[23:24]
	v_fma_f64 v[80:81], v[80:81], -0.5, v[104:105]
	v_add_f64 v[82:83], v[38:39], -v[29:30]
	v_fma_f64 v[48:49], v[70:71], s[6:7], v[52:53]
	v_fma_f64 v[52:53], v[70:71], s[8:9], v[52:53]
	v_add_f64 v[50:51], v[13:14], v[50:51]
	v_fma_f64 v[70:71], v[17:18], s[8:9], v[46:47]
	v_add_f64 v[13:14], v[38:39], v[29:30]
	;; [unrolled: 2-line block ×3, first 2 shown]
	v_add_f64 v[66:67], v[25:26], v[58:59]
	v_fma_f64 v[84:85], v[82:83], s[6:7], v[80:81]
	v_fma_f64 v[80:81], v[82:83], s[8:9], v[80:81]
	v_add_f64 v[82:83], v[56:57], v[60:61]
	v_add_f64 v[38:39], v[128:129], v[38:39]
	v_fma_f64 v[13:14], v[13:14], -0.5, v[128:129]
	v_add_f64 v[21:22], v[23:24], -v[21:22]
	v_add_f64 v[23:24], v[0:1], v[25:26]
	v_fma_f64 v[0:1], v[66:67], -0.5, v[0:1]
	v_add_f64 v[66:67], v[56:57], -v[60:61]
	v_add_f64 v[56:57], v[130:131], v[56:57]
	v_fma_f64 v[82:83], v[82:83], -0.5, v[130:131]
	v_add_f64 v[25:26], v[25:26], -v[58:59]
	v_add_f64 v[29:30], v[38:39], v[29:30]
	v_fma_f64 v[38:39], v[21:22], s[8:9], v[13:14]
	v_fma_f64 v[86:87], v[21:22], s[6:7], v[13:14]
	v_add_f64 v[13:14], v[23:24], v[58:59]
	v_fma_f64 v[21:22], v[66:67], s[6:7], v[0:1]
	v_mul_u32_u24_e32 v23, 0x90, v9
	v_mov_b32_e32 v9, 3
	v_fma_f64 v[0:1], v[66:67], s[8:9], v[0:1]
	v_lshlrev_b32_sdwa v10, v9, v10 dst_sel:DWORD dst_unused:UNUSED_PAD src0_sel:DWORD src1_sel:BYTE_0
	v_add_f64 v[56:57], v[56:57], v[60:61]
	v_fma_f64 v[58:59], v[25:26], s[8:9], v[82:83]
	v_fma_f64 v[60:61], v[25:26], s[6:7], v[82:83]
	v_add3_u32 v26, 0, v23, v10
	v_mul_u32_u24_e32 v10, 0x90, v33
	v_lshlrev_b32_sdwa v23, v9, v134 dst_sel:DWORD dst_unused:UNUSED_PAD src0_sel:DWORD src1_sel:BYTE_0
	v_add3_u32 v33, 0, v10, v23
	ds_write2_b64 v26, v[54:55], v[62:63] offset1:6
	ds_write_b64 v26, v[40:41] offset:96
	ds_write2_b64 v33, v[11:12], v[15:16] offset1:6
	ds_write_b64 v33, v[64:65] offset:96
	v_mul_u32_u24_e32 v10, 0x90, v135
	v_lshlrev_b32_e32 v11, 3, v136
	v_add3_u32 v40, 0, v10, v11
	v_mul_u32_u24_e32 v10, 0x90, v137
	v_lshlrev_b32_e32 v11, 3, v138
	v_add3_u32 v41, 0, v10, v11
	v_mul_u32_u24_e32 v10, 0x90, v139
	v_lshlrev_b32_e32 v11, 3, v140
	ds_write2_b64 v40, v[19:20], v[48:49] offset1:6
	ds_write_b64 v40, v[52:53] offset:96
	v_add3_u32 v48, 0, v10, v11
	ds_write2_b64 v41, v[17:18], v[84:85] offset1:6
	ds_write_b64 v41, v[80:81] offset:96
	ds_write2_b64 v48, v[13:14], v[21:22] offset1:6
	ds_write_b64 v48, v[0:1] offset:96
	s_waitcnt lgkmcnt(0)
	s_barrier
	ds_read_b64 v[0:1], v117
	ds_read2_b64 v[10:13], v34 offset0:108 offset1:234
	ds_read_b64 v[112:113], v120
	ds_read2_b64 v[14:17], v35 offset0:116 offset1:242
	ds_read2_b64 v[18:21], v42 offset0:104 offset1:230
	;; [unrolled: 1-line block ×3, first 2 shown]
	ds_read_b64 v[122:123], v121
	ds_read_b64 v[124:125], v119
	;; [unrolled: 1-line block ×4, first 2 shown]
	ds_read_b64 v[128:129], v117 offset:14112
	s_waitcnt lgkmcnt(0)
	s_barrier
	ds_write2_b64 v26, v[27:28], v[68:69] offset1:6
	ds_write_b64 v26, v[31:32] offset:96
	ds_write2_b64 v33, v[44:45], v[72:73] offset1:6
	ds_write_b64 v33, v[36:37] offset:96
	ds_write2_b64 v40, v[50:51], v[70:71] offset1:6
	ds_write_b64 v40, v[46:47] offset:96
	ds_write2_b64 v41, v[29:30], v[38:39] offset1:6
	ds_write_b64 v41, v[86:87] offset:96
	ds_write2_b64 v48, v[56:57], v[58:59] offset1:6
	ds_write_b64 v48, v[60:61] offset:96
	v_mov_b32_e32 v30, 57
	v_mul_lo_u16_sdwa v26, v114, v30 dst_sel:DWORD dst_unused:UNUSED_PAD src0_sel:BYTE_0 src1_sel:DWORD
	v_mul_lo_u16_sdwa v30, v115, v30 dst_sel:DWORD dst_unused:UNUSED_PAD src0_sel:BYTE_0 src1_sel:DWORD
	v_lshrrev_b16_e32 v130, 10, v26
	v_lshrrev_b16_e32 v132, 10, v30
	v_mul_lo_u16_e32 v26, 18, v130
	v_mul_lo_u16_e32 v30, 18, v132
	v_sub_u16_e32 v131, v114, v26
	v_sub_u16_e32 v133, v115, v30
	v_lshlrev_b32_sdwa v31, v8, v131 dst_sel:DWORD dst_unused:UNUSED_PAD src0_sel:DWORD src1_sel:BYTE_0
	v_lshlrev_b32_sdwa v8, v8, v133 dst_sel:DWORD dst_unused:UNUSED_PAD src0_sel:DWORD src1_sel:BYTE_0
	s_waitcnt lgkmcnt(0)
	s_barrier
	global_load_dwordx4 v[26:29], v31, s[12:13] offset:256
	global_load_dwordx4 v[44:47], v31, s[12:13] offset:272
	;; [unrolled: 1-line block ×4, first 2 shown]
	v_mul_u32_u24_sdwa v8, v116, s0 dst_sel:DWORD dst_unused:UNUSED_PAD src0_sel:WORD_0 src1_sel:DWORD
	v_lshrrev_b32_e32 v8, 20, v8
	v_mul_lo_u16_e32 v30, 18, v8
	v_sub_u16_e32 v134, v116, v30
	v_lshlrev_b32_e32 v30, 5, v134
	global_load_dwordx4 v[64:67], v30, s[12:13] offset:256
	global_load_dwordx4 v[68:71], v30, s[12:13] offset:272
	v_mul_u32_u24_sdwa v30, v79, s0 dst_sel:DWORD dst_unused:UNUSED_PAD src0_sel:WORD_0 src1_sel:DWORD
	v_lshrrev_b32_e32 v135, 20, v30
	v_mul_lo_u16_e32 v30, 18, v135
	v_sub_u16_e32 v136, v79, v30
	v_lshlrev_b32_e32 v30, 5, v136
	global_load_dwordx4 v[84:87], v30, s[12:13] offset:256
	global_load_dwordx4 v[88:91], v30, s[12:13] offset:272
	;; [unrolled: 7-line block ×3, first 2 shown]
	ds_read_b64 v[38:39], v117
	ds_read2_b64 v[80:83], v34 offset0:108 offset1:234
	ds_read_b64 v[30:31], v5
	ds_read_b64 v[40:41], v120
	ds_read2_b64 v[100:103], v35 offset0:116 offset1:242
	ds_read2_b64 v[104:107], v42 offset0:104 offset1:230
	ds_read_b64 v[72:73], v117 offset:14112
	ds_read2_b64 v[108:111], v43 offset0:112 offset1:238
	ds_read_b64 v[34:35], v121
	ds_read_b64 v[32:33], v119
	;; [unrolled: 1-line block ×3, first 2 shown]
	s_waitcnt vmcnt(0) lgkmcnt(0)
	s_barrier
	v_mul_u32_u24_e32 v8, 0x1b0, v8
	v_cmp_gt_u32_e64 s[0:1], 18, v114
	v_mul_f64 v[36:37], v[30:31], v[28:29]
	v_mul_f64 v[28:29], v[52:53], v[28:29]
	v_mul_f64 v[42:43], v[80:81], v[46:47]
	v_mul_f64 v[56:57], v[100:101], v[62:63]
	v_mul_f64 v[78:79], v[82:83], v[50:51]
	v_mul_f64 v[46:47], v[10:11], v[46:47]
	v_mul_f64 v[62:63], v[14:15], v[62:63]
	v_fma_f64 v[52:53], v[52:53], v[26:27], -v[36:37]
	v_fma_f64 v[54:55], v[30:31], v[26:27], v[28:29]
	v_mul_f64 v[26:27], v[12:13], v[50:51]
	v_fma_f64 v[58:59], v[10:11], v[44:45], -v[42:43]
	v_mul_f64 v[10:11], v[102:103], v[66:67]
	v_fma_f64 v[56:57], v[14:15], v[60:61], -v[56:57]
	v_fma_f64 v[78:79], v[12:13], v[48:49], -v[78:79]
	v_mul_f64 v[12:13], v[16:17], v[66:67]
	v_mul_f64 v[14:15], v[104:105], v[70:71]
	v_fma_f64 v[36:37], v[80:81], v[44:45], v[46:47]
	v_fma_f64 v[46:47], v[82:83], v[48:49], v[26:27]
	v_mul_f64 v[28:29], v[106:107], v[90:91]
	v_fma_f64 v[42:43], v[16:17], v[64:65], -v[10:11]
	v_mul_f64 v[10:11], v[108:109], v[86:87]
	v_mul_f64 v[16:17], v[22:23], v[86:87]
	v_fma_f64 v[48:49], v[102:103], v[64:65], v[12:13]
	v_mul_f64 v[12:13], v[20:21], v[90:91]
	v_fma_f64 v[50:51], v[18:19], v[68:69], -v[14:15]
	v_mul_f64 v[14:15], v[110:111], v[94:95]
	v_fma_f64 v[80:81], v[100:101], v[60:61], v[62:63]
	v_mul_f64 v[26:27], v[18:19], v[70:71]
	v_fma_f64 v[82:83], v[22:23], v[84:85], -v[10:11]
	v_fma_f64 v[86:87], v[108:109], v[84:85], v[16:17]
	v_fma_f64 v[84:85], v[20:21], v[88:89], -v[28:29]
	v_add_f64 v[10:11], v[52:53], v[58:59]
	v_fma_f64 v[88:89], v[106:107], v[88:89], v[12:13]
	v_mul_f64 v[12:13], v[24:25], v[94:95]
	v_mul_f64 v[16:17], v[72:73], v[98:99]
	v_fma_f64 v[90:91], v[24:25], v[92:93], -v[14:15]
	v_add_f64 v[14:15], v[56:57], v[78:79]
	v_mul_f64 v[18:19], v[128:129], v[98:99]
	v_add_f64 v[20:21], v[0:1], v[52:53]
	v_fma_f64 v[0:1], v[10:11], -0.5, v[0:1]
	v_add_f64 v[10:11], v[54:55], -v[36:37]
	v_fma_f64 v[94:95], v[110:111], v[92:93], v[12:13]
	v_fma_f64 v[92:93], v[128:129], v[96:97], -v[16:17]
	v_add_f64 v[16:17], v[80:81], -v[46:47]
	v_fma_f64 v[14:15], v[14:15], -0.5, v[112:113]
	v_fma_f64 v[44:45], v[104:105], v[68:69], v[26:27]
	v_fma_f64 v[96:97], v[72:73], v[96:97], v[18:19]
	v_add_f64 v[18:19], v[20:21], v[58:59]
	v_fma_f64 v[20:21], v[10:11], s[6:7], v[0:1]
	v_add_f64 v[22:23], v[42:43], v[50:51]
	;; [unrolled: 2-line block ×3, first 2 shown]
	v_fma_f64 v[24:25], v[16:17], s[6:7], v[14:15]
	v_fma_f64 v[14:15], v[16:17], s[8:9], v[14:15]
	v_add_f64 v[16:17], v[90:91], v[92:93]
	v_add_f64 v[12:13], v[112:113], v[56:57]
	;; [unrolled: 1-line block ×3, first 2 shown]
	v_fma_f64 v[22:23], v[22:23], -0.5, v[122:123]
	v_add_f64 v[28:29], v[48:49], -v[44:45]
	v_add_f64 v[30:31], v[124:125], v[82:83]
	v_fma_f64 v[0:1], v[0:1], -0.5, v[124:125]
	v_add_f64 v[60:61], v[86:87], -v[88:89]
	v_add_f64 v[62:63], v[126:127], v[90:91]
	v_fma_f64 v[16:17], v[16:17], -0.5, v[126:127]
	v_add_f64 v[64:65], v[94:95], -v[96:97]
	v_add_f64 v[12:13], v[12:13], v[78:79]
	v_add_f64 v[26:27], v[26:27], v[50:51]
	v_fma_f64 v[66:67], v[28:29], s[6:7], v[22:23]
	v_fma_f64 v[22:23], v[28:29], s[8:9], v[22:23]
	v_add_f64 v[28:29], v[30:31], v[84:85]
	v_fma_f64 v[30:31], v[60:61], s[6:7], v[0:1]
	v_add_f64 v[62:63], v[62:63], v[92:93]
	v_fma_f64 v[68:69], v[64:65], s[6:7], v[16:17]
	v_fma_f64 v[60:61], v[60:61], s[8:9], v[0:1]
	;; [unrolled: 1-line block ×3, first 2 shown]
	v_mul_u32_u24_e32 v16, 0x1b0, v130
	v_lshlrev_b32_sdwa v17, v9, v131 dst_sel:DWORD dst_unused:UNUSED_PAD src0_sel:DWORD src1_sel:BYTE_0
	v_add3_u32 v98, 0, v16, v17
	ds_write2_b64 v98, v[18:19], v[20:21] offset1:18
	ds_write_b64 v98, v[10:11] offset:288
	v_mul_u32_u24_e32 v10, 0x1b0, v132
	v_lshlrev_b32_sdwa v9, v9, v133 dst_sel:DWORD dst_unused:UNUSED_PAD src0_sel:DWORD src1_sel:BYTE_0
	v_add3_u32 v99, 0, v10, v9
	v_lshlrev_b32_e32 v9, 3, v134
	v_add3_u32 v100, 0, v8, v9
	v_mul_u32_u24_e32 v8, 0x1b0, v135
	v_lshlrev_b32_e32 v9, 3, v136
	v_add3_u32 v101, 0, v8, v9
	v_mul_u32_u24_e32 v8, 0x1b0, v137
	v_lshlrev_b32_e32 v9, 3, v138
	v_add3_u32 v102, 0, v8, v9
	v_add_u32_e32 v103, 0x800, v117
	v_add_u32_e32 v104, 0x1000, v117
	;; [unrolled: 1-line block ×6, first 2 shown]
	ds_write2_b64 v99, v[12:13], v[24:25] offset1:18
	ds_write_b64 v99, v[14:15] offset:288
	ds_write2_b64 v100, v[26:27], v[66:67] offset1:18
	ds_write_b64 v100, v[22:23] offset:288
	;; [unrolled: 2-line block ×4, first 2 shown]
	s_waitcnt lgkmcnt(0)
	s_barrier
	ds_read2_b64 v[28:31], v103 offset0:14 offset1:140
	ds_read2_b64 v[24:27], v104 offset0:28 offset1:154
	;; [unrolled: 1-line block ×6, first 2 shown]
	ds_read_b64 v[62:63], v117
	ds_read_b64 v[60:61], v120
                                        ; implicit-def: $vgpr64_vgpr65
                                        ; implicit-def: $vgpr66_vgpr67
                                        ; implicit-def: $vgpr68_vgpr69
                                        ; implicit-def: $vgpr70_vgpr71
                                        ; implicit-def: $vgpr72_vgpr73
	s_and_saveexec_b64 s[14:15], s[0:1]
	s_cbranch_execz .LBB0_21
; %bb.20:
	ds_read_b64 v[2:3], v117 offset:4176
	ds_read_b64 v[72:73], v117 offset:6336
	;; [unrolled: 1-line block ×5, first 2 shown]
	ds_read_b64 v[0:1], v121
	ds_read_b64 v[64:65], v117 offset:14976
.LBB0_21:
	s_or_b64 exec, exec, s[14:15]
	v_add_f64 v[109:110], v[54:55], v[36:37]
	v_add_f64 v[111:112], v[80:81], v[46:47]
	v_add_f64 v[56:57], v[56:57], -v[78:79]
	v_add_f64 v[78:79], v[48:49], v[44:45]
	v_add_f64 v[54:55], v[38:39], v[54:55]
	v_add_f64 v[52:53], v[52:53], -v[58:59]
	v_add_f64 v[58:59], v[40:41], v[80:81]
	v_add_f64 v[80:81], v[86:87], v[88:89]
	v_fma_f64 v[38:39], v[109:110], -0.5, v[38:39]
	v_fma_f64 v[40:41], v[111:112], -0.5, v[40:41]
	v_add_f64 v[109:110], v[94:95], v[96:97]
	v_add_f64 v[48:49], v[34:35], v[48:49]
	v_fma_f64 v[34:35], v[78:79], -0.5, v[34:35]
	v_add_f64 v[42:43], v[42:43], -v[50:51]
	v_add_f64 v[36:37], v[54:55], v[36:37]
	v_add_f64 v[50:51], v[32:33], v[86:87]
	v_fma_f64 v[54:55], v[52:53], s[8:9], v[38:39]
	v_fma_f64 v[38:39], v[52:53], s[6:7], v[38:39]
	;; [unrolled: 1-line block ×4, first 2 shown]
	v_fma_f64 v[32:33], v[80:81], -0.5, v[32:33]
	v_add_f64 v[56:57], v[82:83], -v[84:85]
	v_add_f64 v[46:47], v[58:59], v[46:47]
	v_add_f64 v[58:59], v[4:5], v[94:95]
	v_fma_f64 v[4:5], v[109:110], -0.5, v[4:5]
	v_add_f64 v[78:79], v[90:91], -v[92:93]
	v_add_f64 v[44:45], v[48:49], v[44:45]
	v_fma_f64 v[48:49], v[42:43], s[8:9], v[34:35]
	v_fma_f64 v[34:35], v[42:43], s[6:7], v[34:35]
	v_add_f64 v[42:43], v[50:51], v[88:89]
	v_fma_f64 v[50:51], v[56:57], s[8:9], v[32:33]
	v_fma_f64 v[32:33], v[56:57], s[6:7], v[32:33]
	;; [unrolled: 3-line block ×3, first 2 shown]
	s_waitcnt lgkmcnt(0)
	s_barrier
	ds_write2_b64 v98, v[36:37], v[54:55] offset1:18
	ds_write_b64 v98, v[38:39] offset:288
	ds_write2_b64 v99, v[46:47], v[52:53] offset1:18
	ds_write_b64 v99, v[40:41] offset:288
	;; [unrolled: 2-line block ×5, first 2 shown]
	s_waitcnt lgkmcnt(0)
	s_barrier
	ds_read2_b64 v[52:55], v103 offset0:14 offset1:140
	ds_read2_b64 v[48:51], v104 offset0:28 offset1:154
	;; [unrolled: 1-line block ×6, first 2 shown]
	ds_read_b64 v[58:59], v117
	ds_read_b64 v[4:5], v120
                                        ; implicit-def: $vgpr78_vgpr79
                                        ; implicit-def: $vgpr80_vgpr81
                                        ; implicit-def: $vgpr82_vgpr83
                                        ; implicit-def: $vgpr84_vgpr85
                                        ; implicit-def: $vgpr86_vgpr87
	s_and_saveexec_b64 s[6:7], s[0:1]
	s_cbranch_execz .LBB0_23
; %bb.22:
	ds_read_b64 v[6:7], v117 offset:4176
	ds_read_b64 v[86:87], v117 offset:6336
	;; [unrolled: 1-line block ×5, first 2 shown]
	ds_read_b64 v[56:57], v121
	ds_read_b64 v[78:79], v117 offset:14976
.LBB0_23:
	s_or_b64 exec, exec, s[6:7]
	v_mov_b32_e32 v88, 19
	v_mul_lo_u16_sdwa v89, v114, v88 dst_sel:DWORD dst_unused:UNUSED_PAD src0_sel:BYTE_0 src1_sel:DWORD
	v_lshrrev_b16_e32 v122, 10, v89
	v_mul_lo_u16_e32 v89, 54, v122
	v_mul_lo_u16_sdwa v88, v115, v88 dst_sel:DWORD dst_unused:UNUSED_PAD src0_sel:BYTE_0 src1_sel:DWORD
	v_sub_u16_e32 v123, v114, v89
	v_mov_b32_e32 v89, 6
	v_lshrrev_b16_e32 v124, 10, v88
	v_mul_u32_u24_sdwa v90, v123, v89 dst_sel:DWORD dst_unused:UNUSED_PAD src0_sel:BYTE_0 src1_sel:DWORD
	v_mul_lo_u16_e32 v88, 54, v124
	v_lshlrev_b32_e32 v96, 4, v90
	v_sub_u16_e32 v125, v115, v88
	v_mul_u32_u24_sdwa v92, v125, v89 dst_sel:DWORD dst_unused:UNUSED_PAD src0_sel:BYTE_0 src1_sel:DWORD
	global_load_dwordx4 v[88:91], v96, s[12:13] offset:832
	v_lshlrev_b32_e32 v97, 4, v92
	global_load_dwordx4 v[92:95], v97, s[12:13] offset:832
	global_load_dwordx4 v[100:103], v96, s[12:13] offset:848
	global_load_dwordx4 v[104:107], v97, s[12:13] offset:848
	global_load_dwordx4 v[108:111], v96, s[12:13] offset:864
	global_load_dwordx4 v[126:129], v97, s[12:13] offset:864
	global_load_dwordx4 v[130:133], v96, s[12:13] offset:880
	global_load_dwordx4 v[134:137], v97, s[12:13] offset:880
	global_load_dwordx4 v[138:141], v96, s[12:13] offset:896
	global_load_dwordx4 v[142:145], v96, s[12:13] offset:912
	global_load_dwordx4 v[146:149], v97, s[12:13] offset:896
	global_load_dwordx4 v[150:153], v97, s[12:13] offset:912
	v_lshrrev_b16_e32 v96, 1, v116
	v_mul_u32_u24_e32 v96, 0x97b5, v96
	v_lshrrev_b32_e32 v96, 20, v96
	v_mul_lo_u16_e32 v96, 54, v96
	v_sub_u16_e32 v212, v116, v96
	v_mul_u32_u24_e32 v96, 6, v212
	v_lshlrev_b32_e32 v96, 4, v96
	global_load_dwordx4 v[154:157], v96, s[12:13] offset:832
	global_load_dwordx4 v[158:161], v96, s[12:13] offset:848
	global_load_dwordx4 v[162:165], v96, s[12:13] offset:864
	global_load_dwordx4 v[166:169], v96, s[12:13] offset:880
	global_load_dwordx4 v[170:173], v96, s[12:13] offset:896
	global_load_dwordx4 v[174:177], v96, s[12:13] offset:912
	s_mov_b32 s8, 0x37e14327
	s_mov_b32 s6, 0x36b3c0b5
	;; [unrolled: 1-line block ×20, first 2 shown]
	s_waitcnt vmcnt(0) lgkmcnt(0)
	s_barrier
	v_mul_f64 v[112:113], v[54:55], v[94:95]
	v_mul_f64 v[180:181], v[48:49], v[102:103]
	;; [unrolled: 1-line block ×23, first 2 shown]
	v_fma_f64 v[94:95], v[28:29], v[88:89], -v[96:97]
	v_fma_f64 v[98:99], v[52:53], v[88:89], v[90:91]
	v_fma_f64 v[30:31], v[30:31], v[92:93], -v[112:113]
	v_fma_f64 v[96:97], v[24:25], v[100:101], -v[180:181]
	v_fma_f64 v[102:103], v[48:49], v[100:101], v[102:103]
	v_fma_f64 v[26:27], v[26:27], v[104:105], -v[182:183]
	v_fma_f64 v[88:89], v[50:51], v[104:105], v[106:107]
	;; [unrolled: 2-line block ×5, first 2 shown]
	v_fma_f64 v[112:113], v[8:9], v[142:143], -v[196:197]
	v_mul_f64 v[186:187], v[46:47], v[128:129]
	v_mul_f64 v[128:129], v[22:23], v[128:129]
	;; [unrolled: 1-line block ×9, first 2 shown]
	v_fma_f64 v[12:13], v[14:15], v[146:147], -v[194:195]
	v_fma_f64 v[32:33], v[32:33], v[142:143], v[144:145]
	v_fma_f64 v[14:15], v[34:35], v[150:151], v[152:153]
	v_fma_f64 v[20:21], v[2:3], v[154:155], -v[200:201]
	v_fma_f64 v[28:29], v[6:7], v[154:155], v[156:157]
	v_add_f64 v[2:3], v[94:95], v[112:113]
	v_add_f64 v[6:7], v[96:97], v[110:111]
	v_fma_f64 v[24:25], v[70:71], v[162:163], -v[204:205]
	v_fma_f64 v[40:41], v[68:69], v[166:167], -v[206:207]
	v_add_f64 v[34:35], v[102:103], -v[36:37]
	v_add_f64 v[68:69], v[100:101], v[106:107]
	v_add_f64 v[70:71], v[108:109], -v[104:105]
	v_mul_f64 v[160:161], v[72:73], v[160:161]
	v_mul_f64 v[172:173], v[66:67], v[172:173]
	v_fma_f64 v[54:55], v[54:55], v[92:93], v[178:179]
	v_fma_f64 v[90:91], v[22:23], v[126:127], -v[186:187]
	v_fma_f64 v[92:93], v[46:47], v[126:127], v[128:129]
	v_fma_f64 v[22:23], v[72:73], v[158:159], -v[202:203]
	v_add_f64 v[72:73], v[6:7], v[2:3]
	v_fma_f64 v[46:47], v[66:67], v[170:171], -v[208:209]
	v_fma_f64 v[50:51], v[64:65], v[174:175], -v[210:211]
	v_add_f64 v[64:65], v[98:99], -v[32:33]
	v_fma_f64 v[52:53], v[78:79], v[174:175], v[176:177]
	v_add_f64 v[66:67], v[70:71], v[34:35]
	v_add_f64 v[78:79], v[6:7], -v[2:3]
	v_add_f64 v[2:3], v[2:3], -v[68:69]
	;; [unrolled: 1-line block ×3, first 2 shown]
	v_mul_f64 v[190:191], v[42:43], v[136:137]
	v_mul_f64 v[136:137], v[18:19], v[136:137]
	v_fma_f64 v[10:11], v[10:11], v[150:151], -v[198:199]
	v_add_f64 v[72:73], v[68:69], v[72:73]
	v_add_f64 v[68:69], v[70:71], -v[34:35]
	v_add_f64 v[70:71], v[64:65], -v[70:71]
	;; [unrolled: 1-line block ×3, first 2 shown]
	v_add_f64 v[64:65], v[66:67], v[64:65]
	v_mul_f64 v[2:3], v[2:3], s[8:9]
	v_mul_f64 v[66:67], v[6:7], s[6:7]
	v_fma_f64 v[16:17], v[18:19], v[134:135], -v[190:191]
	v_fma_f64 v[18:19], v[42:43], v[134:135], v[136:137]
	v_fma_f64 v[8:9], v[38:39], v[146:147], v[148:149]
	;; [unrolled: 1-line block ×3, first 2 shown]
	v_mul_f64 v[68:69], v[68:69], s[16:17]
	v_add_f64 v[82:83], v[26:27], v[12:13]
	v_fma_f64 v[6:7], v[6:7], s[6:7], v[2:3]
	v_fma_f64 v[66:67], v[78:79], s[20:21], -v[66:67]
	v_fma_f64 v[2:3], v[78:79], s[22:23], -v[2:3]
	v_add_f64 v[78:79], v[30:31], v[10:11]
	v_fma_f64 v[42:43], v[86:87], v[158:159], v[160:161]
	v_fma_f64 v[38:39], v[84:85], v[162:163], v[164:165]
	;; [unrolled: 1-line block ×3, first 2 shown]
	v_add_f64 v[62:63], v[62:63], v[72:73]
	v_mul_f64 v[80:81], v[34:35], s[14:15]
	v_fma_f64 v[84:85], v[70:71], s[24:25], v[68:69]
	v_add_f64 v[86:87], v[90:91], v[16:17]
	v_fma_f64 v[34:35], v[34:35], s[14:15], -v[68:69]
	v_add_f64 v[68:69], v[82:83], v[78:79]
	v_add_f64 v[126:127], v[88:89], -v[8:9]
	v_add_f64 v[128:129], v[18:19], -v[92:93]
	;; [unrolled: 1-line block ×3, first 2 shown]
	v_fma_f64 v[72:73], v[72:73], s[18:19], v[62:63]
	v_fma_f64 v[70:71], v[70:71], s[26:27], -v[80:81]
	v_add_f64 v[80:81], v[78:79], -v[86:87]
	v_add_f64 v[132:133], v[86:87], -v[82:83]
	v_add_f64 v[68:69], v[86:87], v[68:69]
	v_add_f64 v[78:79], v[82:83], -v[78:79]
	v_add_f64 v[86:87], v[128:129], v[126:127]
	v_add_f64 v[82:83], v[126:127], -v[130:131]
	v_add_f64 v[126:127], v[128:129], -v[126:127]
	v_add_f64 v[6:7], v[6:7], v[72:73]
	v_add_f64 v[66:67], v[66:67], v[72:73]
	v_mul_f64 v[80:81], v[80:81], s[8:9]
	v_mul_f64 v[134:135], v[132:133], s[6:7]
	v_add_f64 v[2:3], v[2:3], v[72:73]
	v_add_f64 v[72:73], v[130:131], -v[128:129]
	v_add_f64 v[86:87], v[86:87], v[130:131]
	v_add_f64 v[128:129], v[60:61], v[68:69]
	v_mul_f64 v[130:131], v[82:83], s[14:15]
	v_mul_f64 v[126:127], v[126:127], s[16:17]
	v_fma_f64 v[60:61], v[132:133], s[6:7], v[80:81]
	v_fma_f64 v[132:133], v[78:79], s[20:21], -v[134:135]
	v_fma_f64 v[78:79], v[78:79], s[22:23], -v[80:81]
	v_fma_f64 v[84:85], v[64:65], s[28:29], v[84:85]
	v_fma_f64 v[34:35], v[64:65], s[28:29], v[34:35]
	;; [unrolled: 1-line block ×3, first 2 shown]
	v_fma_f64 v[80:81], v[72:73], s[26:27], -v[130:131]
	v_fma_f64 v[72:73], v[72:73], s[24:25], v[126:127]
	v_fma_f64 v[82:83], v[82:83], s[14:15], -v[126:127]
	v_fma_f64 v[64:65], v[64:65], s[28:29], v[70:71]
	v_add_f64 v[70:71], v[84:85], v[6:7]
	v_add_f64 v[6:7], v[6:7], -v[84:85]
	v_add_f64 v[60:61], v[60:61], v[68:69]
	v_add_f64 v[126:127], v[132:133], v[68:69]
	v_fma_f64 v[72:73], v[86:87], s[28:29], v[72:73]
	v_add_f64 v[68:69], v[78:79], v[68:69]
	v_fma_f64 v[78:79], v[86:87], s[28:29], v[80:81]
	v_fma_f64 v[80:81], v[86:87], s[28:29], v[82:83]
	v_add_f64 v[82:83], v[64:65], v[2:3]
	v_add_f64 v[86:87], v[66:67], -v[34:35]
	v_add_f64 v[34:35], v[34:35], v[66:67]
	v_add_f64 v[2:3], v[2:3], -v[64:65]
	;; [unrolled: 2-line block ×5, first 2 shown]
	v_mov_b32_e32 v78, 3
	v_mul_u32_u24_e32 v60, 0xbd0, v122
	v_lshlrev_b32_sdwa v61, v78, v123 dst_sel:DWORD dst_unused:UNUSED_PAD src0_sel:DWORD src1_sel:BYTE_0
	v_add3_u32 v61, 0, v60, v61
	ds_write2_b64 v61, v[62:63], v[70:71] offset1:54
	ds_write2_b64 v61, v[82:83], v[86:87] offset0:108 offset1:162
	v_add_u32_e32 v63, 0x400, v61
	ds_write2_b64 v63, v[34:35], v[2:3] offset0:88 offset1:142
	ds_write_b64 v61, v[6:7] offset:2592
	v_mul_u32_u24_e32 v2, 0xbd0, v124
	v_lshlrev_b32_sdwa v3, v78, v125 dst_sel:DWORD dst_unused:UNUSED_PAD src0_sel:DWORD src1_sel:BYTE_0
	v_add3_u32 v62, 0, v2, v3
	ds_write2_b64 v62, v[128:129], v[64:65] offset1:54
	ds_write2_b64 v62, v[66:67], v[84:85] offset0:108 offset1:162
	v_add_u32_e32 v64, 0x400, v62
	v_lshl_add_u32 v60, v212, 3, 0
	ds_write2_b64 v64, v[80:81], v[68:69] offset0:88 offset1:142
	ds_write_b64 v62, v[72:73] offset:2592
	s_and_saveexec_b64 s[30:31], s[0:1]
	s_cbranch_execz .LBB0_25
; %bb.24:
	v_add_f64 v[2:3], v[22:23], v[46:47]
	v_add_f64 v[6:7], v[20:21], v[50:51]
	v_add_f64 v[34:35], v[44:45], -v[38:39]
	v_add_f64 v[65:66], v[42:43], -v[48:49]
	v_add_f64 v[67:68], v[24:25], v[40:41]
	v_add_f64 v[69:70], v[28:29], -v[52:53]
	v_add_f64 v[71:72], v[2:3], v[6:7]
	v_add_f64 v[78:79], v[34:35], -v[65:66]
	v_add_f64 v[80:81], v[6:7], -v[67:68]
	;; [unrolled: 1-line block ×4, first 2 shown]
	v_add_f64 v[65:66], v[34:35], v[65:66]
	v_add_f64 v[34:35], v[69:70], -v[34:35]
	v_add_f64 v[67:68], v[67:68], v[71:72]
	v_add_f64 v[2:3], v[2:3], -v[6:7]
	v_mul_f64 v[6:7], v[78:79], s[16:17]
	v_mul_f64 v[71:72], v[80:81], s[8:9]
	;; [unrolled: 1-line block ×4, first 2 shown]
	v_add_f64 v[65:66], v[65:66], v[69:70]
	v_add_f64 v[0:1], v[0:1], v[67:68]
	v_fma_f64 v[69:70], v[34:35], s[24:25], v[6:7]
	v_fma_f64 v[86:87], v[2:3], s[22:23], -v[71:72]
	v_fma_f64 v[34:35], v[34:35], s[26:27], -v[78:79]
	;; [unrolled: 1-line block ×4, first 2 shown]
	v_fma_f64 v[71:72], v[84:85], s[6:7], v[71:72]
	v_fma_f64 v[67:68], v[67:68], s[18:19], v[0:1]
	;; [unrolled: 1-line block ×5, first 2 shown]
	v_add_f64 v[65:66], v[86:87], v[67:68]
	v_add_f64 v[2:3], v[2:3], v[67:68]
	;; [unrolled: 1-line block ×3, first 2 shown]
	v_add_f64 v[71:72], v[65:66], -v[34:35]
	v_add_f64 v[78:79], v[2:3], -v[6:7]
	v_add_f64 v[80:81], v[69:70], v[67:68]
	v_add_f64 v[34:35], v[34:35], v[65:66]
	;; [unrolled: 1-line block ×3, first 2 shown]
	v_add_f64 v[6:7], v[67:68], -v[69:70]
	v_add_u32_e32 v65, 0x2c00, v60
	v_add_u32_e32 v66, 0x3000, v60
	ds_write2_b64 v65, v[0:1], v[80:81] offset0:104 offset1:158
	ds_write2_b64 v66, v[34:35], v[78:79] offset0:84 offset1:138
	;; [unrolled: 1-line block ×3, first 2 shown]
	ds_write_b64 v60, v[6:7] offset:14688
.LBB0_25:
	s_or_b64 exec, exec, s[30:31]
	v_add_f64 v[0:1], v[98:99], v[32:33]
	v_add_f64 v[2:3], v[102:103], v[36:37]
	;; [unrolled: 1-line block ×3, first 2 shown]
	v_add_f64 v[6:7], v[94:95], -v[112:113]
	v_add_f64 v[32:33], v[96:97], -v[110:111]
	v_add_f64 v[36:37], v[106:107], -v[100:101]
	v_add_f64 v[10:11], v[30:31], -v[10:11]
	v_add_f64 v[12:13], v[26:27], -v[12:13]
	v_add_f64 v[14:15], v[54:55], v[14:15]
	v_add_f64 v[65:66], v[2:3], v[0:1]
	v_add_f64 v[26:27], v[0:1], -v[34:35]
	v_add_f64 v[8:9], v[88:89], v[8:9]
	v_add_f64 v[0:1], v[2:3], -v[0:1]
	v_add_f64 v[54:55], v[36:37], v[32:33]
	v_add_f64 v[18:19], v[92:93], v[18:19]
	v_add_f64 v[16:17], v[16:17], -v[90:91]
	s_waitcnt lgkmcnt(0)
	v_add_f64 v[30:31], v[34:35], v[65:66]
	v_add_f64 v[34:35], v[34:35], -v[2:3]
	v_add_f64 v[2:3], v[36:37], -v[32:33]
	;; [unrolled: 1-line block ×3, first 2 shown]
	v_mul_f64 v[26:27], v[26:27], s[8:9]
	v_add_f64 v[36:37], v[6:7], -v[36:37]
	v_add_f64 v[67:68], v[8:9], v[14:15]
	v_add_f64 v[6:7], v[54:55], v[6:7]
	;; [unrolled: 1-line block ×3, first 2 shown]
	v_mul_f64 v[65:66], v[34:35], s[6:7]
	v_mul_f64 v[2:3], v[2:3], s[16:17]
	;; [unrolled: 1-line block ×3, first 2 shown]
	v_fma_f64 v[34:35], v[34:35], s[6:7], v[26:27]
	v_add_f64 v[69:70], v[14:15], -v[18:19]
	v_add_f64 v[71:72], v[18:19], -v[8:9]
	v_add_f64 v[18:19], v[18:19], v[67:68]
	v_fma_f64 v[30:31], v[30:31], s[18:19], v[58:59]
	v_fma_f64 v[65:66], v[0:1], s[20:21], -v[65:66]
	v_fma_f64 v[0:1], v[0:1], s[22:23], -v[26:27]
	v_fma_f64 v[26:27], v[36:37], s[24:25], v[2:3]
	v_fma_f64 v[2:3], v[32:33], s[14:15], -v[2:3]
	v_fma_f64 v[32:33], v[36:37], s[26:27], -v[54:55]
	v_add_f64 v[54:55], v[12:13], -v[10:11]
	v_add_f64 v[8:9], v[8:9], -v[14:15]
	v_add_f64 v[34:35], v[34:35], v[30:31]
	v_add_f64 v[36:37], v[65:66], v[30:31]
	;; [unrolled: 1-line block ×3, first 2 shown]
	v_add_f64 v[30:31], v[16:17], -v[12:13]
	v_add_f64 v[12:13], v[16:17], v[12:13]
	v_add_f64 v[65:66], v[4:5], v[18:19]
	v_mul_f64 v[4:5], v[69:70], s[8:9]
	v_mul_f64 v[14:15], v[71:72], s[6:7]
	v_add_f64 v[16:17], v[10:11], -v[16:17]
	v_mul_f64 v[67:68], v[54:55], s[14:15]
	v_fma_f64 v[26:27], v[6:7], s[28:29], v[26:27]
	v_mul_f64 v[30:31], v[30:31], s[16:17]
	v_add_f64 v[10:11], v[12:13], v[10:11]
	v_fma_f64 v[12:13], v[18:19], s[18:19], v[65:66]
	v_fma_f64 v[18:19], v[71:72], s[6:7], v[4:5]
	v_fma_f64 v[14:15], v[8:9], s[20:21], -v[14:15]
	v_fma_f64 v[4:5], v[8:9], s[22:23], -v[4:5]
	v_fma_f64 v[2:3], v[6:7], s[28:29], v[2:3]
	v_fma_f64 v[6:7], v[6:7], s[28:29], v[32:33]
	;; [unrolled: 1-line block ×3, first 2 shown]
	v_fma_f64 v[16:17], v[16:17], s[26:27], -v[67:68]
	v_fma_f64 v[30:31], v[54:55], s[14:15], -v[30:31]
	v_add_f64 v[18:19], v[18:19], v[12:13]
	v_add_f64 v[14:15], v[14:15], v[12:13]
	;; [unrolled: 1-line block ×3, first 2 shown]
	s_barrier
	v_add_f64 v[69:70], v[0:1], -v[6:7]
	v_fma_f64 v[8:9], v[10:11], s[28:29], v[8:9]
	v_fma_f64 v[12:13], v[10:11], s[28:29], v[16:17]
	;; [unrolled: 1-line block ×3, first 2 shown]
	v_add_f64 v[80:81], v[6:7], v[0:1]
	v_add_u32_e32 v0, 0x2000, v117
	v_add_f64 v[67:68], v[34:35], -v[26:27]
	v_add_f64 v[71:72], v[2:3], v[36:37]
	v_add_f64 v[84:85], v[18:19], -v[8:9]
	v_add_f64 v[86:87], v[4:5], -v[12:13]
	v_add_f64 v[92:93], v[12:13], v[4:5]
	v_add_u32_e32 v12, 0x1800, v117
	v_add_f64 v[94:95], v[8:9], v[18:19]
	ds_read2_b64 v[4:7], v0 offset0:110 offset1:236
	v_add_u32_e32 v0, 0x2800, v117
	v_add_u32_e32 v8, 0xc00, v117
	ds_read2_b64 v[16:19], v12 offset0:114 offset1:240
	v_add_u32_e32 v12, 0x3000, v117
	v_add_f64 v[78:79], v[36:37], -v[2:3]
	v_add_f64 v[82:83], v[26:27], v[34:35]
	v_add_f64 v[88:89], v[10:11], v[14:15]
	v_add_f64 v[90:91], v[14:15], -v[10:11]
	ds_read_b64 v[32:33], v119
	v_lshl_add_u32 v54, v118, 3, 0
	ds_read2_b64 v[0:3], v0 offset0:106 offset1:232
	ds_read2_b64 v[8:11], v8 offset0:120 offset1:246
	;; [unrolled: 1-line block ×3, first 2 shown]
	ds_read_b64 v[30:31], v117
	ds_read_b64 v[34:35], v54
	;; [unrolled: 1-line block ×4, first 2 shown]
	s_waitcnt lgkmcnt(0)
	s_barrier
	ds_write2_b64 v61, v[58:59], v[67:68] offset1:54
	ds_write2_b64 v61, v[69:70], v[71:72] offset0:108 offset1:162
	ds_write2_b64 v63, v[78:79], v[80:81] offset0:88 offset1:142
	ds_write_b64 v61, v[82:83] offset:2592
	ds_write2_b64 v62, v[65:66], v[84:85] offset1:54
	ds_write2_b64 v62, v[86:87], v[88:89] offset0:108 offset1:162
	ds_write2_b64 v64, v[90:91], v[92:93] offset0:88 offset1:142
	ds_write_b64 v62, v[94:95] offset:2592
	s_and_saveexec_b64 s[6:7], s[0:1]
	s_cbranch_execz .LBB0_27
; %bb.26:
	v_add_f64 v[28:29], v[28:29], v[52:53]
	v_add_f64 v[42:43], v[42:43], v[48:49]
	;; [unrolled: 1-line block ×3, first 2 shown]
	v_add_f64 v[24:25], v[40:41], -v[24:25]
	v_add_f64 v[22:23], v[22:23], -v[46:47]
	;; [unrolled: 1-line block ×3, first 2 shown]
	s_mov_b32 s8, 0x36b3c0b5
	s_mov_b32 s0, 0x37e14327
	;; [unrolled: 1-line block ×3, first 2 shown]
	v_add_f64 v[40:41], v[42:43], v[28:29]
	v_add_f64 v[44:45], v[28:29], -v[38:39]
	s_mov_b32 s1, 0x3fe948f6
	v_add_f64 v[46:47], v[24:25], v[22:23]
	v_add_f64 v[48:49], v[24:25], -v[22:23]
	v_add_f64 v[22:23], v[22:23], -v[20:21]
	s_mov_b32 s14, 0xe976ee23
	v_add_f64 v[28:29], v[42:43], -v[28:29]
	v_add_f64 v[40:41], v[38:39], v[40:41]
	v_add_f64 v[38:39], v[38:39], -v[42:43]
	s_mov_b32 s15, 0xbfe11646
	s_mov_b32 s16, 0x429ad128
	v_mul_f64 v[44:45], v[44:45], s[0:1]
	s_mov_b32 s17, 0x3febfeb5
	v_add_f64 v[24:25], v[20:21], -v[24:25]
	v_add_f64 v[20:21], v[46:47], v[20:21]
	v_add_f64 v[50:51], v[56:57], v[40:41]
	v_mul_f64 v[42:43], v[38:39], s[8:9]
	v_mul_f64 v[46:47], v[48:49], s[14:15]
	;; [unrolled: 1-line block ×3, first 2 shown]
	s_mov_b32 s1, 0x3fe77f67
	s_mov_b32 s0, 0x5476071b
	v_fma_f64 v[38:39], v[38:39], s[8:9], v[44:45]
	v_fma_f64 v[40:41], v[40:41], s[18:19], v[50:51]
	v_fma_f64 v[42:43], v[28:29], s[0:1], -v[42:43]
	s_mov_b32 s1, 0xbfe77f67
	v_fma_f64 v[28:29], v[28:29], s[0:1], -v[44:45]
	s_mov_b32 s1, 0x3fd5d0dc
	s_mov_b32 s0, 0xb247c609
	v_fma_f64 v[44:45], v[24:25], s[0:1], v[46:47]
	s_mov_b32 s1, 0xbfd5d0dc
	v_fma_f64 v[24:25], v[24:25], s[0:1], -v[48:49]
	v_fma_f64 v[22:23], v[22:23], s[16:17], -v[46:47]
	s_mov_b32 s0, 0x37c3f68c
	s_mov_b32 s1, 0x3fdc38aa
	v_add_f64 v[38:39], v[38:39], v[40:41]
	v_add_f64 v[42:43], v[42:43], v[40:41]
	;; [unrolled: 1-line block ×3, first 2 shown]
	v_fma_f64 v[40:41], v[20:21], s[0:1], v[44:45]
	v_fma_f64 v[24:25], v[20:21], s[0:1], v[24:25]
	;; [unrolled: 1-line block ×3, first 2 shown]
	v_add_f64 v[22:23], v[38:39], -v[40:41]
	v_add_f64 v[44:45], v[28:29], -v[24:25]
	v_add_f64 v[46:47], v[20:21], v[42:43]
	v_add_f64 v[20:21], v[42:43], -v[20:21]
	v_add_f64 v[24:25], v[24:25], v[28:29]
	v_add_f64 v[28:29], v[40:41], v[38:39]
	v_add_u32_e32 v38, 0x2c00, v60
	ds_write2_b64 v38, v[50:51], v[22:23] offset0:104 offset1:158
	v_add_u32_e32 v22, 0x3000, v60
	ds_write2_b64 v22, v[44:45], v[46:47] offset0:84 offset1:138
	ds_write2_b64 v22, v[20:21], v[24:25] offset0:192 offset1:246
	ds_write_b64 v60, v[28:29] offset:14688
.LBB0_27:
	s_or_b64 exec, exec, s[6:7]
	s_waitcnt lgkmcnt(0)
	s_barrier
	s_and_saveexec_b64 s[0:1], vcc
	s_cbranch_execz .LBB0_29
; %bb.28:
	v_lshlrev_b32_e32 v24, 2, v116
	v_mov_b32_e32 v25, 0
	v_lshlrev_b64 v[20:21], 4, v[24:25]
	v_mov_b32_e32 v73, s13
	v_add_co_u32_e32 v20, vcc, s12, v20
	v_addc_co_u32_e32 v24, vcc, v73, v21, vcc
	v_add_co_u32_e32 v28, vcc, 0x1780, v20
	v_addc_co_u32_e32 v29, vcc, 0, v24, vcc
	;; [unrolled: 2-line block ×3, first 2 shown]
	global_load_dwordx4 v[20:23], v[28:29], off offset:32
	global_load_dwordx4 v[40:43], v[28:29], off offset:16
	;; [unrolled: 1-line block ×4, first 2 shown]
	v_add_u32_e32 v24, 0x1800, v117
	v_add_u32_e32 v59, 0xc00, v117
	;; [unrolled: 1-line block ×4, first 2 shown]
	v_mul_lo_u32 v78, s5, v76
	v_mul_lo_u32 v77, s4, v77
	v_mad_u64_u32 v[38:39], s[0:1], s4, v76, 0
	ds_read_b64 v[28:29], v121
	ds_read_b64 v[52:53], v120
	ds_read2_b64 v[55:58], v24 offset0:114 offset1:240
	ds_read2_b64 v[59:62], v59 offset0:120 offset1:246
	;; [unrolled: 1-line block ×4, first 2 shown]
	v_lshlrev_b32_e32 v24, 2, v115
	v_lshlrev_b64 v[71:72], 4, v[24:25]
	s_movk_i32 s16, 0x1780
	v_add_co_u32_e32 v76, vcc, s12, v71
	v_add3_u32 v39, v39, v77, v78
	v_addc_co_u32_e32 v77, vcc, v73, v72, vcc
	v_add_co_u32_e32 v71, vcc, s16, v76
	s_movk_i32 s13, 0x1000
	v_addc_co_u32_e32 v72, vcc, 0, v77, vcc
	v_add_co_u32_e32 v92, vcc, s13, v76
	v_addc_co_u32_e32 v93, vcc, 0, v77, vcc
	global_load_dwordx4 v[76:79], v[92:93], off offset:1920
	global_load_dwordx4 v[80:83], v[71:72], off offset:48
	;; [unrolled: 1-line block ×4, first 2 shown]
	v_lshlrev_b32_e32 v24, 2, v114
	v_lshlrev_b64 v[24:25], 4, v[24:25]
	s_mov_b32 s6, 0x134454ff
	v_add_co_u32_e32 v108, vcc, s12, v24
	v_addc_co_u32_e32 v73, vcc, v73, v25, vcc
	s_mov_b32 s7, 0xbfee6f0e
	s_mov_b32 s15, 0x3fee6f0e
	;; [unrolled: 1-line block ×9, first 2 shown]
	s_waitcnt vmcnt(7) lgkmcnt(1)
	v_mul_f64 v[92:93], v[20:21], v[63:64]
	s_waitcnt vmcnt(6)
	v_mul_f64 v[71:72], v[40:41], v[57:58]
	v_mul_f64 v[57:58], v[42:43], v[57:58]
	;; [unrolled: 1-line block ×3, first 2 shown]
	s_waitcnt vmcnt(5)
	v_mul_f64 v[94:95], v[44:45], v[61:62]
	s_waitcnt vmcnt(4) lgkmcnt(0)
	v_mul_f64 v[96:97], v[48:49], v[69:70]
	v_mul_f64 v[69:70], v[50:51], v[69:70]
	;; [unrolled: 1-line block ×3, first 2 shown]
	v_fma_f64 v[22:23], v[0:1], v[22:23], v[92:93]
	v_fma_f64 v[42:43], v[18:19], v[42:43], v[71:72]
	v_fma_f64 v[57:58], v[18:19], v[40:41], -v[57:58]
	v_fma_f64 v[0:1], v[0:1], v[20:21], -v[63:64]
	v_fma_f64 v[18:19], v[10:11], v[46:47], v[94:95]
	v_fma_f64 v[20:21], v[14:15], v[50:51], v[96:97]
	v_fma_f64 v[94:95], v[14:15], v[48:49], -v[69:70]
	v_fma_f64 v[92:93], v[10:11], v[44:45], -v[61:62]
	v_add_f64 v[14:15], v[42:43], v[22:23]
	v_add_f64 v[96:97], v[42:43], -v[22:23]
	v_add_f64 v[10:11], v[57:58], -v[0:1]
	;; [unrolled: 1-line block ×3, first 2 shown]
	v_add_f64 v[48:49], v[18:19], v[20:21]
	v_add_f64 v[50:51], v[18:19], -v[42:43]
	v_add_f64 v[63:64], v[18:19], v[28:29]
	v_add_f64 v[100:101], v[18:19], -v[20:21]
	;; [unrolled: 2-line block ×3, first 2 shown]
	v_add_f64 v[46:47], v[92:93], -v[94:95]
	v_add_f64 v[98:99], v[92:93], v[94:95]
	v_fma_f64 v[18:19], v[48:49], -0.5, v[28:29]
	v_fma_f64 v[14:15], v[14:15], -0.5, v[28:29]
	v_add_f64 v[28:29], v[42:43], v[63:64]
	v_add_f64 v[61:62], v[20:21], -v[22:23]
	v_fma_f64 v[106:107], v[24:25], -0.5, v[26:27]
	v_add_f64 v[24:25], v[40:41], v[44:45]
	v_add_f64 v[69:70], v[57:58], -v[92:93]
	v_fma_f64 v[40:41], v[98:99], -0.5, v[26:27]
	v_fma_f64 v[48:49], v[10:11], s[6:7], v[18:19]
	v_fma_f64 v[18:19], v[10:11], s[14:15], v[18:19]
	;; [unrolled: 1-line block ×4, first 2 shown]
	v_add_f64 v[71:72], v[0:1], -v[94:95]
	v_add_f64 v[22:23], v[22:23], v[28:29]
	v_add_f64 v[42:43], v[50:51], v[61:62]
	v_fma_f64 v[61:62], v[96:97], s[14:15], v[40:41]
	v_fma_f64 v[48:49], v[46:47], s[4:5], v[48:49]
	;; [unrolled: 1-line block ×6, first 2 shown]
	v_add_f64 v[50:51], v[69:70], v[71:72]
	v_add_co_u32_e32 v71, vcc, s16, v108
	v_addc_co_u32_e32 v72, vcc, 0, v73, vcc
	v_add_f64 v[28:29], v[20:21], v[22:23]
	v_fma_f64 v[20:21], v[24:25], s[0:1], v[48:49]
	v_fma_f64 v[24:25], v[24:25], s[0:1], v[18:19]
	v_add_co_u32_e32 v18, vcc, s13, v108
	v_addc_co_u32_e32 v19, vcc, 0, v73, vcc
	v_fma_f64 v[22:23], v[100:101], s[8:9], v[61:62]
	v_fma_f64 v[61:62], v[100:101], s[4:5], v[40:41]
	;; [unrolled: 1-line block ×4, first 2 shown]
	global_load_dwordx4 v[40:43], v[18:19], off offset:1920
	global_load_dwordx4 v[44:47], v[71:72], off offset:48
	v_add_f64 v[102:103], v[92:93], -v[57:58]
	v_add_f64 v[104:105], v[94:95], -v[0:1]
	v_fma_f64 v[69:70], v[100:101], s[6:7], v[106:107]
	v_fma_f64 v[18:19], v[50:51], s[0:1], v[22:23]
	;; [unrolled: 1-line block ×3, first 2 shown]
	global_load_dwordx4 v[48:51], v[71:72], off offset:32
	global_load_dwordx4 v[61:64], v[71:72], off offset:16
	s_waitcnt vmcnt(6)
	v_mul_f64 v[108:109], v[80:81], v[67:68]
	v_add_f64 v[26:27], v[26:27], v[92:93]
	s_waitcnt vmcnt(4)
	v_mul_f64 v[92:93], v[88:89], v[55:56]
	v_add_f64 v[98:99], v[102:103], v[104:105]
	v_fma_f64 v[104:105], v[96:97], s[8:9], v[69:70]
	v_add_u32_e32 v69, 0x2000, v117
	ds_read2_b64 v[69:72], v69 offset0:110 offset1:236
	v_mul_f64 v[102:103], v[76:77], v[59:60]
	v_fma_f64 v[100:101], v[100:101], s[14:15], v[106:107]
	v_fma_f64 v[108:109], v[12:13], v[82:83], v[108:109]
	v_add_f64 v[26:27], v[57:58], v[26:27]
	s_waitcnt lgkmcnt(0)
	v_mul_f64 v[106:107], v[84:85], v[71:72]
	v_mul_f64 v[71:72], v[86:87], v[71:72]
	v_fma_f64 v[57:58], v[16:17], v[90:91], v[92:93]
	v_mul_f64 v[59:60], v[78:79], v[59:60]
	v_fma_f64 v[102:103], v[8:9], v[78:79], v[102:103]
	v_mul_f64 v[67:68], v[82:83], v[67:68]
	v_mul_f64 v[55:56], v[90:91], v[55:56]
	v_add_f64 v[0:1], v[26:27], v[0:1]
	v_fma_f64 v[78:79], v[6:7], v[86:87], v[106:107]
	v_fma_f64 v[84:85], v[6:7], v[84:85], -v[71:72]
	v_fma_f64 v[6:7], v[96:97], s[4:5], v[100:101]
	v_fma_f64 v[76:77], v[8:9], v[76:77], -v[59:60]
	v_add_f64 v[82:83], v[102:103], v[108:109]
	v_fma_f64 v[80:81], v[12:13], v[80:81], -v[67:68]
	v_fma_f64 v[16:17], v[16:17], v[88:89], -v[55:56]
	ds_read_b64 v[86:87], v54
	v_add_f64 v[26:27], v[57:58], v[78:79]
	v_add_f64 v[90:91], v[102:103], -v[57:58]
	v_fma_f64 v[12:13], v[98:99], s[0:1], v[6:7]
	v_add_f64 v[6:7], v[57:58], -v[102:103]
	v_fma_f64 v[54:55], v[82:83], -0.5, v[52:53]
	v_add_f64 v[59:60], v[76:77], -v[80:81]
	v_add_f64 v[82:83], v[78:79], -v[108:109]
	v_add_f64 v[88:89], v[76:77], v[80:81]
	v_fma_f64 v[71:72], v[26:27], -0.5, v[52:53]
	v_add_f64 v[67:68], v[16:17], -v[84:85]
	v_add_f64 v[26:27], v[0:1], v[94:95]
	v_add_f64 v[92:93], v[108:109], -v[78:79]
	v_add_f64 v[52:53], v[102:103], v[52:53]
	v_fma_f64 v[8:9], v[98:99], s[0:1], v[104:105]
	v_add_f64 v[6:7], v[6:7], v[82:83]
	v_fma_f64 v[82:83], v[88:89], -0.5, v[36:37]
	v_fma_f64 v[94:95], v[59:60], s[14:15], v[71:72]
	v_add_f64 v[88:89], v[57:58], -v[78:79]
	v_fma_f64 v[0:1], v[67:68], s[6:7], v[54:55]
	v_fma_f64 v[54:55], v[67:68], s[14:15], v[54:55]
	v_add_f64 v[90:91], v[90:91], v[92:93]
	v_fma_f64 v[71:72], v[59:60], s[6:7], v[71:72]
	v_add_f64 v[52:53], v[57:58], v[52:53]
	v_add_f64 v[56:57], v[16:17], -v[76:77]
	v_fma_f64 v[92:93], v[67:68], s[4:5], v[94:95]
	v_add_f64 v[94:95], v[84:85], -v[80:81]
	v_fma_f64 v[98:99], v[88:89], s[14:15], v[82:83]
	;; [unrolled: 2-line block ×3, first 2 shown]
	v_fma_f64 v[96:97], v[59:60], s[8:9], v[54:55]
	v_fma_f64 v[67:68], v[67:68], s[8:9], v[71:72]
	v_add_f64 v[52:53], v[78:79], v[52:53]
	v_fma_f64 v[82:83], v[88:89], s[6:7], v[82:83]
	v_add_f64 v[56:57], v[56:57], v[94:95]
	v_fma_f64 v[58:59], v[90:91], s[0:1], v[92:93]
	v_fma_f64 v[78:79], v[100:101], s[8:9], v[98:99]
	;; [unrolled: 1-line block ×4, first 2 shown]
	ds_read_b64 v[96:97], v119
	ds_read_b64 v[98:99], v117
	v_add_f64 v[0:1], v[16:17], v[84:85]
	v_fma_f64 v[67:68], v[90:91], s[0:1], v[67:68]
	v_add_f64 v[71:72], v[108:109], v[52:53]
	v_fma_f64 v[52:53], v[56:57], s[0:1], v[78:79]
	v_fma_f64 v[78:79], v[100:101], s[4:5], v[82:83]
	s_waitcnt vmcnt(3) lgkmcnt(1)
	v_mul_f64 v[82:83], v[40:41], v[96:97]
	s_waitcnt vmcnt(2)
	v_mul_f64 v[90:91], v[44:45], v[65:66]
	v_add_f64 v[92:93], v[76:77], -v[16:17]
	v_add_f64 v[94:95], v[80:81], -v[84:85]
	v_fma_f64 v[0:1], v[0:1], -0.5, v[36:37]
	v_add_f64 v[36:37], v[36:37], v[76:77]
	s_waitcnt vmcnt(1)
	v_mul_f64 v[104:105], v[48:49], v[69:70]
	s_waitcnt vmcnt(0)
	v_mul_f64 v[102:103], v[61:62], v[86:87]
	v_fma_f64 v[82:83], v[32:33], v[42:43], v[82:83]
	v_fma_f64 v[90:91], v[2:3], v[46:47], v[90:91]
	v_mul_f64 v[86:87], v[63:64], v[86:87]
	v_mul_f64 v[69:70], v[50:51], v[69:70]
	v_add_f64 v[92:93], v[92:93], v[94:95]
	v_fma_f64 v[94:95], v[100:101], s[6:7], v[0:1]
	v_fma_f64 v[0:1], v[100:101], s[14:15], v[0:1]
	;; [unrolled: 1-line block ×4, first 2 shown]
	v_mul_f64 v[42:43], v[42:43], v[96:97]
	v_mul_f64 v[46:47], v[46:47], v[65:66]
	v_add_f64 v[65:66], v[82:83], v[90:91]
	v_fma_f64 v[34:35], v[34:35], v[61:62], -v[86:87]
	v_fma_f64 v[48:49], v[4:5], v[48:49], -v[69:70]
	v_fma_f64 v[60:61], v[88:89], s[8:9], v[94:95]
	v_fma_f64 v[0:1], v[88:89], s[4:5], v[0:1]
	v_add_f64 v[16:17], v[16:17], v[36:37]
	v_fma_f64 v[40:41], v[32:33], v[40:41], -v[42:43]
	v_fma_f64 v[44:45], v[2:3], v[44:45], -v[46:47]
	v_add_f64 v[2:3], v[63:64], v[50:51]
	s_waitcnt lgkmcnt(0)
	v_fma_f64 v[32:33], v[65:66], -0.5, v[98:99]
	v_add_f64 v[36:37], v[34:35], -v[48:49]
	v_add_f64 v[42:43], v[63:64], -v[82:83]
	;; [unrolled: 1-line block ×3, first 2 shown]
	v_fma_f64 v[4:5], v[56:57], s[0:1], v[78:79]
	v_fma_f64 v[56:57], v[92:93], s[0:1], v[60:61]
	v_add_f64 v[60:61], v[40:41], -v[44:45]
	v_fma_f64 v[2:3], v[2:3], -0.5, v[98:99]
	v_fma_f64 v[65:66], v[92:93], s[0:1], v[0:1]
	v_fma_f64 v[0:1], v[36:37], s[6:7], v[32:33]
	v_add_f64 v[16:17], v[16:17], v[84:85]
	v_fma_f64 v[32:33], v[36:37], s[14:15], v[32:33]
	v_add_f64 v[42:43], v[42:43], v[46:47]
	v_add_f64 v[46:47], v[82:83], -v[63:64]
	v_add_f64 v[76:77], v[90:91], -v[50:51]
	v_fma_f64 v[78:79], v[60:61], s[14:15], v[2:3]
	v_add_f64 v[84:85], v[82:83], v[98:99]
	v_fma_f64 v[0:1], v[60:61], s[4:5], v[0:1]
	v_add_f64 v[69:70], v[16:17], v[80:81]
	v_fma_f64 v[16:17], v[60:61], s[8:9], v[32:33]
	v_fma_f64 v[60:61], v[60:61], s[6:7], v[2:3]
	v_add_f64 v[86:87], v[40:41], v[44:45]
	v_add_f64 v[46:47], v[46:47], v[76:77]
	v_fma_f64 v[76:77], v[36:37], s[4:5], v[78:79]
	v_add_f64 v[78:79], v[63:64], v[84:85]
	v_fma_f64 v[2:3], v[42:43], s[0:1], v[0:1]
	v_add_f64 v[62:63], v[63:64], -v[50:51]
	v_fma_f64 v[32:33], v[42:43], s[0:1], v[16:17]
	v_fma_f64 v[16:17], v[36:37], s[8:9], v[60:61]
	v_add_f64 v[60:61], v[34:35], v[48:49]
	v_fma_f64 v[0:1], v[86:87], -0.5, v[30:31]
	v_add_f64 v[82:83], v[82:83], -v[90:91]
	v_fma_f64 v[36:37], v[46:47], s[0:1], v[76:77]
	v_add_f64 v[50:51], v[50:51], v[78:79]
	v_add_f64 v[76:77], v[34:35], -v[40:41]
	v_add_f64 v[78:79], v[48:49], -v[44:45]
	v_fma_f64 v[42:43], v[46:47], s[0:1], v[16:17]
	v_fma_f64 v[16:17], v[60:61], -0.5, v[30:31]
	v_fma_f64 v[80:81], v[62:63], s[14:15], v[0:1]
	v_fma_f64 v[0:1], v[62:63], s[6:7], v[0:1]
	v_add_f64 v[30:31], v[30:31], v[40:41]
	v_add_f64 v[60:61], v[40:41], -v[34:35]
	v_add_f64 v[84:85], v[44:45], -v[48:49]
	v_add_f64 v[46:47], v[90:91], v[50:51]
	v_add_f64 v[50:51], v[76:77], v[78:79]
	v_fma_f64 v[40:41], v[82:83], s[6:7], v[16:17]
	v_fma_f64 v[16:17], v[82:83], s[14:15], v[16:17]
	;; [unrolled: 1-line block ×3, first 2 shown]
	v_lshrrev_b32_e32 v0, 1, v114
	s_mov_b32 s6, 0xad602b59
	v_mul_hi_u32 v64, v0, s6
	v_add_f64 v[0:1], v[34:35], v[30:31]
	v_fma_f64 v[76:77], v[82:83], s[8:9], v[80:81]
	v_add_f64 v[60:61], v[60:61], v[84:85]
	v_lshrrev_b32_e32 v30, 7, v64
	v_fma_f64 v[16:17], v[62:63], s[4:5], v[16:17]
	v_mul_u32_u24_e32 v30, 0x17a, v30
	v_sub_u32_e32 v64, v114, v30
	v_fma_f64 v[34:35], v[62:63], s[8:9], v[40:41]
	v_mad_u64_u32 v[62:63], s[4:5], s2, v64, 0
	v_add_f64 v[48:49], v[0:1], v[48:49]
	v_fma_f64 v[0:1], v[50:51], s[0:1], v[76:77]
	v_mov_b32_e32 v40, v63
	v_fma_f64 v[30:31], v[50:51], s[0:1], v[78:79]
	v_mad_u64_u32 v[50:51], s[4:5], s3, v64, v[40:41]
	v_fma_f64 v[40:41], v[60:61], s[0:1], v[16:17]
	v_lshlrev_b64 v[16:17], 4, v[38:39]
	v_add_f64 v[44:45], v[48:49], v[44:45]
	v_mov_b32_e32 v63, v50
	v_mov_b32_e32 v38, s11
	v_add_co_u32_e32 v48, vcc, s10, v16
	v_add_u32_e32 v50, 0x17a, v64
	v_fma_f64 v[34:35], v[60:61], s[0:1], v[34:35]
	v_addc_co_u32_e32 v49, vcc, v38, v17, vcc
	v_mad_u64_u32 v[38:39], s[0:1], s2, v50, 0
	v_lshlrev_b64 v[16:17], 4, v[74:75]
	s_movk_i32 s4, 0x762
	v_add_co_u32_e32 v51, vcc, v48, v16
	v_addc_co_u32_e32 v60, vcc, v49, v17, vcc
	v_lshlrev_b64 v[16:17], 4, v[62:63]
	v_mad_u64_u32 v[48:49], s[0:1], s3, v50, v[39:40]
	v_add_co_u32_e32 v16, vcc, v51, v16
	v_addc_co_u32_e32 v17, vcc, v60, v17, vcc
	global_store_dwordx4 v[16:17], v[44:47], off
	v_mov_b32_e32 v39, v48
	v_add_u32_e32 v44, 0x2f4, v64
	v_lshlrev_b64 v[16:17], 4, v[38:39]
	v_mad_u64_u32 v[38:39], s[0:1], s2, v44, 0
	v_add_co_u32_e32 v16, vcc, v51, v16
	v_mad_u64_u32 v[44:45], s[0:1], s3, v44, v[39:40]
	v_addc_co_u32_e32 v17, vcc, v60, v17, vcc
	v_mov_b32_e32 v39, v44
	global_store_dwordx4 v[16:17], v[40:43], off
	v_lshlrev_b64 v[16:17], 4, v[38:39]
	v_add_u32_e32 v47, 0x46e, v64
	v_mad_u64_u32 v[45:46], s[0:1], s2, v47, 0
	v_add_co_u32_e32 v16, vcc, v51, v16
	v_addc_co_u32_e32 v17, vcc, v60, v17, vcc
	global_store_dwordx4 v[16:17], v[30:33], off
	v_mov_b32_e32 v38, v46
	v_add_u32_e32 v32, 0x5e8, v64
	v_mad_u64_u32 v[30:31], s[0:1], s2, v32, 0
	v_mad_u64_u32 v[38:39], s[0:1], s3, v47, v[38:39]
	;; [unrolled: 1-line block ×3, first 2 shown]
	v_add_u32_e32 v32, 0x7e, v114
	v_mov_b32_e32 v46, v38
	v_lshrrev_b32_e32 v33, 1, v32
	v_lshlrev_b64 v[16:17], 4, v[45:46]
	v_mul_hi_u32 v33, v33, s6
	v_add_co_u32_e32 v16, vcc, v51, v16
	v_addc_co_u32_e32 v17, vcc, v60, v17, vcc
	global_store_dwordx4 v[16:17], v[0:3], off
	s_nop 0
	v_lshrrev_b32_e32 v2, 7, v33
	v_mul_u32_u24_e32 v3, 0x17a, v2
	v_sub_u32_e32 v3, v32, v3
	v_mad_u32_u24 v32, v2, s4, v3
	v_mad_u64_u32 v[2:3], s[0:1], s2, v32, 0
	v_lshlrev_b64 v[0:1], 4, v[30:31]
	v_mad_u64_u32 v[16:17], s[0:1], s3, v32, v[3:4]
	v_add_u32_e32 v17, 0x17a, v32
	v_mad_u64_u32 v[30:31], s[0:1], s2, v17, 0
	v_add_co_u32_e32 v0, vcc, v51, v0
	v_addc_co_u32_e32 v1, vcc, v60, v1, vcc
	v_mov_b32_e32 v3, v16
	global_store_dwordx4 v[0:1], v[34:37], off
	v_lshlrev_b64 v[0:1], 4, v[2:3]
	v_mov_b32_e32 v2, v31
	v_mad_u64_u32 v[2:3], s[0:1], s3, v17, v[2:3]
	v_add_u32_e32 v16, 0x2f4, v32
	v_add_co_u32_e32 v0, vcc, v51, v0
	v_mov_b32_e32 v31, v2
	v_mad_u64_u32 v[2:3], s[0:1], s2, v16, 0
	v_addc_co_u32_e32 v1, vcc, v60, v1, vcc
	v_mad_u64_u32 v[16:17], s[0:1], s3, v16, v[3:4]
	v_add_u32_e32 v17, 0x46e, v32
	global_store_dwordx4 v[0:1], v[69:72], off
	v_lshlrev_b64 v[0:1], 4, v[30:31]
	v_mad_u64_u32 v[30:31], s[0:1], s2, v17, 0
	v_add_co_u32_e32 v0, vcc, v51, v0
	v_addc_co_u32_e32 v1, vcc, v60, v1, vcc
	v_mov_b32_e32 v3, v16
	global_store_dwordx4 v[0:1], v[65:68], off
	v_lshlrev_b64 v[0:1], 4, v[2:3]
	v_mov_b32_e32 v2, v31
	v_mad_u64_u32 v[2:3], s[0:1], s3, v17, v[2:3]
	v_add_co_u32_e32 v0, vcc, v51, v0
	v_addc_co_u32_e32 v1, vcc, v60, v1, vcc
	global_store_dwordx4 v[0:1], v[4:7], off
	v_mov_b32_e32 v31, v2
	v_add_u32_e32 v4, 0x5e8, v32
	v_add_u32_e32 v5, 0xfc, v114
	v_mad_u64_u32 v[2:3], s[0:1], s2, v4, 0
	v_lshrrev_b32_e32 v6, 1, v5
	v_mul_hi_u32 v6, v6, s6
	v_mad_u64_u32 v[3:4], s[0:1], s3, v4, v[3:4]
	v_lshlrev_b64 v[0:1], 4, v[30:31]
	v_lshrrev_b32_e32 v4, 7, v6
	v_mul_u32_u24_e32 v6, 0x17a, v4
	v_sub_u32_e32 v5, v5, v6
	v_mad_u32_u24 v6, v4, s4, v5
	v_mad_u64_u32 v[4:5], s[0:1], s2, v6, 0
	v_add_co_u32_e32 v0, vcc, v51, v0
	v_addc_co_u32_e32 v1, vcc, v60, v1, vcc
	global_store_dwordx4 v[0:1], v[52:55], off
	v_lshlrev_b64 v[0:1], 4, v[2:3]
	v_mov_b32_e32 v2, v5
	v_mad_u64_u32 v[2:3], s[0:1], s3, v6, v[2:3]
	v_add_co_u32_e32 v0, vcc, v51, v0
	v_addc_co_u32_e32 v1, vcc, v60, v1, vcc
	v_mov_b32_e32 v5, v2
	global_store_dwordx4 v[0:1], v[56:59], off
	v_lshlrev_b64 v[0:1], 4, v[4:5]
	v_add_u32_e32 v4, 0x17a, v6
	v_mad_u64_u32 v[2:3], s[0:1], s2, v4, 0
	v_add_u32_e32 v7, 0x2f4, v6
	v_add_co_u32_e32 v0, vcc, v51, v0
	v_mad_u64_u32 v[3:4], s[0:1], s3, v4, v[3:4]
	v_mad_u64_u32 v[4:5], s[0:1], s2, v7, 0
	v_addc_co_u32_e32 v1, vcc, v60, v1, vcc
	global_store_dwordx4 v[0:1], v[26:29], off
	v_lshlrev_b64 v[0:1], 4, v[2:3]
	v_mov_b32_e32 v2, v5
	v_mad_u64_u32 v[2:3], s[0:1], s3, v7, v[2:3]
	v_add_co_u32_e32 v0, vcc, v51, v0
	v_addc_co_u32_e32 v1, vcc, v60, v1, vcc
	v_mov_b32_e32 v5, v2
	global_store_dwordx4 v[0:1], v[12:15], off
	v_lshlrev_b64 v[0:1], 4, v[4:5]
	v_add_u32_e32 v4, 0x46e, v6
	v_mad_u64_u32 v[2:3], s[0:1], s2, v4, 0
	v_add_u32_e32 v6, 0x5e8, v6
	v_add_co_u32_e32 v0, vcc, v51, v0
	v_mad_u64_u32 v[3:4], s[0:1], s3, v4, v[3:4]
	v_mad_u64_u32 v[4:5], s[0:1], s2, v6, 0
	v_addc_co_u32_e32 v1, vcc, v60, v1, vcc
	global_store_dwordx4 v[0:1], v[22:25], off
	v_lshlrev_b64 v[0:1], 4, v[2:3]
	v_mov_b32_e32 v2, v5
	v_mad_u64_u32 v[2:3], s[0:1], s3, v6, v[2:3]
	v_add_co_u32_e32 v0, vcc, v51, v0
	v_addc_co_u32_e32 v1, vcc, v60, v1, vcc
	v_mov_b32_e32 v5, v2
	global_store_dwordx4 v[0:1], v[18:21], off
	v_lshlrev_b64 v[0:1], 4, v[4:5]
	v_add_co_u32_e32 v0, vcc, v51, v0
	v_addc_co_u32_e32 v1, vcc, v60, v1, vcc
	global_store_dwordx4 v[0:1], v[8:11], off
.LBB0_29:
	s_endpgm
	.section	.rodata,"a",@progbits
	.p2align	6, 0x0
	.amdhsa_kernel fft_rtc_fwd_len1890_factors_2_3_3_3_7_5_wgs_126_tpt_126_halfLds_dp_op_CI_CI_sbrr_dirReg
		.amdhsa_group_segment_fixed_size 0
		.amdhsa_private_segment_fixed_size 0
		.amdhsa_kernarg_size 104
		.amdhsa_user_sgpr_count 6
		.amdhsa_user_sgpr_private_segment_buffer 1
		.amdhsa_user_sgpr_dispatch_ptr 0
		.amdhsa_user_sgpr_queue_ptr 0
		.amdhsa_user_sgpr_kernarg_segment_ptr 1
		.amdhsa_user_sgpr_dispatch_id 0
		.amdhsa_user_sgpr_flat_scratch_init 0
		.amdhsa_user_sgpr_private_segment_size 0
		.amdhsa_uses_dynamic_stack 0
		.amdhsa_system_sgpr_private_segment_wavefront_offset 0
		.amdhsa_system_sgpr_workgroup_id_x 1
		.amdhsa_system_sgpr_workgroup_id_y 0
		.amdhsa_system_sgpr_workgroup_id_z 0
		.amdhsa_system_sgpr_workgroup_info 0
		.amdhsa_system_vgpr_workitem_id 0
		.amdhsa_next_free_vgpr 213
		.amdhsa_next_free_sgpr 32
		.amdhsa_reserve_vcc 1
		.amdhsa_reserve_flat_scratch 0
		.amdhsa_float_round_mode_32 0
		.amdhsa_float_round_mode_16_64 0
		.amdhsa_float_denorm_mode_32 3
		.amdhsa_float_denorm_mode_16_64 3
		.amdhsa_dx10_clamp 1
		.amdhsa_ieee_mode 1
		.amdhsa_fp16_overflow 0
		.amdhsa_exception_fp_ieee_invalid_op 0
		.amdhsa_exception_fp_denorm_src 0
		.amdhsa_exception_fp_ieee_div_zero 0
		.amdhsa_exception_fp_ieee_overflow 0
		.amdhsa_exception_fp_ieee_underflow 0
		.amdhsa_exception_fp_ieee_inexact 0
		.amdhsa_exception_int_div_zero 0
	.end_amdhsa_kernel
	.text
.Lfunc_end0:
	.size	fft_rtc_fwd_len1890_factors_2_3_3_3_7_5_wgs_126_tpt_126_halfLds_dp_op_CI_CI_sbrr_dirReg, .Lfunc_end0-fft_rtc_fwd_len1890_factors_2_3_3_3_7_5_wgs_126_tpt_126_halfLds_dp_op_CI_CI_sbrr_dirReg
                                        ; -- End function
	.section	.AMDGPU.csdata,"",@progbits
; Kernel info:
; codeLenInByte = 14620
; NumSgprs: 36
; NumVgprs: 213
; ScratchSize: 0
; MemoryBound: 1
; FloatMode: 240
; IeeeMode: 1
; LDSByteSize: 0 bytes/workgroup (compile time only)
; SGPRBlocks: 4
; VGPRBlocks: 53
; NumSGPRsForWavesPerEU: 36
; NumVGPRsForWavesPerEU: 213
; Occupancy: 1
; WaveLimiterHint : 1
; COMPUTE_PGM_RSRC2:SCRATCH_EN: 0
; COMPUTE_PGM_RSRC2:USER_SGPR: 6
; COMPUTE_PGM_RSRC2:TRAP_HANDLER: 0
; COMPUTE_PGM_RSRC2:TGID_X_EN: 1
; COMPUTE_PGM_RSRC2:TGID_Y_EN: 0
; COMPUTE_PGM_RSRC2:TGID_Z_EN: 0
; COMPUTE_PGM_RSRC2:TIDIG_COMP_CNT: 0
	.type	__hip_cuid_78b99258956556a0,@object ; @__hip_cuid_78b99258956556a0
	.section	.bss,"aw",@nobits
	.globl	__hip_cuid_78b99258956556a0
__hip_cuid_78b99258956556a0:
	.byte	0                               ; 0x0
	.size	__hip_cuid_78b99258956556a0, 1

	.ident	"AMD clang version 19.0.0git (https://github.com/RadeonOpenCompute/llvm-project roc-6.4.0 25133 c7fe45cf4b819c5991fe208aaa96edf142730f1d)"
	.section	".note.GNU-stack","",@progbits
	.addrsig
	.addrsig_sym __hip_cuid_78b99258956556a0
	.amdgpu_metadata
---
amdhsa.kernels:
  - .args:
      - .actual_access:  read_only
        .address_space:  global
        .offset:         0
        .size:           8
        .value_kind:     global_buffer
      - .offset:         8
        .size:           8
        .value_kind:     by_value
      - .actual_access:  read_only
        .address_space:  global
        .offset:         16
        .size:           8
        .value_kind:     global_buffer
      - .actual_access:  read_only
        .address_space:  global
        .offset:         24
        .size:           8
        .value_kind:     global_buffer
      - .actual_access:  read_only
        .address_space:  global
        .offset:         32
        .size:           8
        .value_kind:     global_buffer
      - .offset:         40
        .size:           8
        .value_kind:     by_value
      - .actual_access:  read_only
        .address_space:  global
        .offset:         48
        .size:           8
        .value_kind:     global_buffer
      - .actual_access:  read_only
        .address_space:  global
        .offset:         56
        .size:           8
        .value_kind:     global_buffer
      - .offset:         64
        .size:           4
        .value_kind:     by_value
      - .actual_access:  read_only
        .address_space:  global
        .offset:         72
        .size:           8
        .value_kind:     global_buffer
      - .actual_access:  read_only
        .address_space:  global
        .offset:         80
        .size:           8
        .value_kind:     global_buffer
      - .actual_access:  read_only
        .address_space:  global
        .offset:         88
        .size:           8
        .value_kind:     global_buffer
      - .actual_access:  write_only
        .address_space:  global
        .offset:         96
        .size:           8
        .value_kind:     global_buffer
    .group_segment_fixed_size: 0
    .kernarg_segment_align: 8
    .kernarg_segment_size: 104
    .language:       OpenCL C
    .language_version:
      - 2
      - 0
    .max_flat_workgroup_size: 126
    .name:           fft_rtc_fwd_len1890_factors_2_3_3_3_7_5_wgs_126_tpt_126_halfLds_dp_op_CI_CI_sbrr_dirReg
    .private_segment_fixed_size: 0
    .sgpr_count:     36
    .sgpr_spill_count: 0
    .symbol:         fft_rtc_fwd_len1890_factors_2_3_3_3_7_5_wgs_126_tpt_126_halfLds_dp_op_CI_CI_sbrr_dirReg.kd
    .uniform_work_group_size: 1
    .uses_dynamic_stack: false
    .vgpr_count:     213
    .vgpr_spill_count: 0
    .wavefront_size: 64
amdhsa.target:   amdgcn-amd-amdhsa--gfx906
amdhsa.version:
  - 1
  - 2
...

	.end_amdgpu_metadata
